;; amdgpu-corpus repo=ROCm/rocFFT kind=compiled arch=gfx1030 opt=O3
	.text
	.amdgcn_target "amdgcn-amd-amdhsa--gfx1030"
	.amdhsa_code_object_version 6
	.protected	fft_rtc_back_len160_factors_2_4_4_5_wgs_250_tpt_10_dim3_sp_ip_CI_sbcc_twdbase8_2step_dirReg ; -- Begin function fft_rtc_back_len160_factors_2_4_4_5_wgs_250_tpt_10_dim3_sp_ip_CI_sbcc_twdbase8_2step_dirReg
	.globl	fft_rtc_back_len160_factors_2_4_4_5_wgs_250_tpt_10_dim3_sp_ip_CI_sbcc_twdbase8_2step_dirReg
	.p2align	8
	.type	fft_rtc_back_len160_factors_2_4_4_5_wgs_250_tpt_10_dim3_sp_ip_CI_sbcc_twdbase8_2step_dirReg,@function
fft_rtc_back_len160_factors_2_4_4_5_wgs_250_tpt_10_dim3_sp_ip_CI_sbcc_twdbase8_2step_dirReg: ; @fft_rtc_back_len160_factors_2_4_4_5_wgs_250_tpt_10_dim3_sp_ip_CI_sbcc_twdbase8_2step_dirReg
; %bb.0:
	s_load_dwordx4 s[0:3], s[4:5], 0x10
	s_waitcnt lgkmcnt(0)
	s_load_dwordx2 s[10:11], s[0:1], 0x8
	s_waitcnt lgkmcnt(0)
	s_add_u32 s7, s10, -1
	s_addc_u32 s8, s11, -1
	s_add_u32 s9, 0, 0xd7093700
	s_addc_u32 s12, 0, 51
	s_mul_hi_u32 s14, s9, 0xffffffe7
	s_add_i32 s12, s12, 0xa3d7070
	s_sub_i32 s14, s14, s9
	s_mul_i32 s16, s12, 0xffffffe7
	s_mul_i32 s13, s9, 0xffffffe7
	s_add_i32 s14, s14, s16
	s_mul_hi_u32 s15, s9, s13
	s_mul_i32 s18, s9, s14
	s_mul_hi_u32 s16, s9, s14
	s_mul_hi_u32 s17, s12, s13
	s_mul_i32 s13, s12, s13
	s_add_u32 s15, s15, s18
	s_addc_u32 s16, 0, s16
	s_mul_hi_u32 s19, s12, s14
	s_add_u32 s13, s15, s13
	s_mul_i32 s14, s12, s14
	s_addc_u32 s13, s16, s17
	s_addc_u32 s15, s19, 0
	s_add_u32 s13, s13, s14
	v_add_co_u32 v1, s9, s9, s13
	s_addc_u32 s13, 0, s15
	s_cmp_lg_u32 s9, 0
	s_addc_u32 s9, s12, s13
	v_readfirstlane_b32 s12, v1
	s_mul_i32 s14, s7, s9
	s_mul_hi_u32 s13, s7, s9
	s_mul_hi_u32 s15, s8, s9
	s_mul_i32 s9, s8, s9
	s_mul_hi_u32 s16, s7, s12
	s_mul_hi_u32 s17, s8, s12
	s_mul_i32 s12, s8, s12
	s_add_u32 s14, s16, s14
	s_addc_u32 s13, 0, s13
	s_add_u32 s12, s14, s12
	s_addc_u32 s12, s13, s17
	s_addc_u32 s13, s15, 0
	s_add_u32 s9, s12, s9
	s_addc_u32 s12, 0, s13
	s_mul_i32 s14, s9, 25
	s_add_u32 s13, s9, 1
	v_sub_co_u32 v1, s7, s7, s14
	s_mul_hi_u32 s14, s9, 25
	s_addc_u32 s15, s12, 0
	s_mul_i32 s16, s12, 25
	v_sub_co_u32 v2, s17, v1, 25
	s_add_u32 s18, s9, 2
	s_addc_u32 s19, s12, 0
	s_add_i32 s14, s14, s16
	s_cmp_lg_u32 s7, 0
	v_readfirstlane_b32 s7, v2
	s_subb_u32 s8, s8, s14
	s_cmp_lg_u32 s17, 0
	s_subb_u32 s14, s8, 0
	s_cmp_gt_u32 s7, 24
	s_cselect_b32 s7, -1, 0
	s_cmp_eq_u32 s14, 0
	v_readfirstlane_b32 s14, v1
	s_cselect_b32 s7, s7, -1
	s_cmp_lg_u32 s7, 0
	s_cselect_b32 s13, s18, s13
	s_cselect_b32 s15, s19, s15
	s_cmp_gt_u32 s14, 24
	s_mov_b64 s[18:19], 0
	s_cselect_b32 s7, -1, 0
	s_cmp_eq_u32 s8, 0
	s_cselect_b32 s7, s7, -1
	s_cmp_lg_u32 s7, 0
	s_mov_b32 s7, 0
	s_cselect_b32 s8, s13, s9
	s_cselect_b32 s9, s15, s12
	s_add_u32 s16, s8, 1
	s_addc_u32 s17, s9, 0
	v_cmp_lt_u64_e64 s8, s[6:7], s[16:17]
	s_and_b32 vcc_lo, exec_lo, s8
	s_cbranch_vccnz .LBB0_2
; %bb.1:
	v_cvt_f32_u32_e32 v1, s16
	s_sub_i32 s9, 0, s16
	s_mov_b32 s19, s7
	v_rcp_iflag_f32_e32 v1, v1
	v_mul_f32_e32 v1, 0x4f7ffffe, v1
	v_cvt_u32_f32_e32 v1, v1
	v_readfirstlane_b32 s8, v1
	s_mul_i32 s9, s9, s8
	s_mul_hi_u32 s9, s8, s9
	s_add_i32 s8, s8, s9
	s_mul_hi_u32 s8, s6, s8
	s_mul_i32 s9, s8, s16
	s_add_i32 s12, s8, 1
	s_sub_i32 s9, s6, s9
	s_sub_i32 s13, s9, s16
	s_cmp_ge_u32 s9, s16
	s_cselect_b32 s8, s12, s8
	s_cselect_b32 s9, s13, s9
	s_add_i32 s12, s8, 1
	s_cmp_ge_u32 s9, s16
	s_cselect_b32 s18, s12, s8
.LBB0_2:
	s_load_dwordx2 s[22:23], s[0:1], 0x10
	s_load_dwordx2 s[12:13], s[2:3], 0x8
	s_waitcnt lgkmcnt(0)
	v_cmp_lt_u64_e64 s0, s[18:19], s[22:23]
	s_and_b32 vcc_lo, exec_lo, s0
	s_mov_b64 s[0:1], s[18:19]
	s_cbranch_vccnz .LBB0_4
; %bb.3:
	v_cvt_f32_u32_e32 v1, s22
	s_sub_i32 s1, 0, s22
	v_rcp_iflag_f32_e32 v1, v1
	v_mul_f32_e32 v1, 0x4f7ffffe, v1
	v_cvt_u32_f32_e32 v1, v1
	v_readfirstlane_b32 s0, v1
	s_mul_i32 s1, s1, s0
	s_mul_hi_u32 s1, s0, s1
	s_add_i32 s0, s0, s1
	s_mul_hi_u32 s0, s18, s0
	s_mul_i32 s0, s0, s22
	s_sub_i32 s0, s18, s0
	s_sub_i32 s1, s0, s22
	s_cmp_ge_u32 s0, s22
	s_cselect_b32 s0, s1, s0
	s_sub_i32 s1, s0, s22
	s_cmp_ge_u32 s0, s22
	s_cselect_b32 s0, s1, s0
.LBB0_4:
	s_load_dwordx2 s[14:15], s[4:5], 0x50
	s_clause 0x1
	s_load_dwordx2 s[8:9], s[2:3], 0x0
	s_load_dwordx2 s[20:21], s[2:3], 0x10
	s_mul_i32 s1, s22, s17
	s_mul_hi_u32 s19, s22, s16
	s_mul_i32 s24, s22, s16
	s_add_i32 s1, s19, s1
	s_mul_i32 s19, s23, s16
	s_mov_b64 s[22:23], 0
	s_add_i32 s25, s1, s19
	v_cmp_lt_u64_e64 s1, s[6:7], s[24:25]
	s_and_b32 vcc_lo, exec_lo, s1
	s_cbranch_vccnz .LBB0_6
; %bb.5:
	v_cvt_f32_u32_e32 v1, s24
	s_sub_i32 s7, 0, s24
	v_rcp_iflag_f32_e32 v1, v1
	v_mul_f32_e32 v1, 0x4f7ffffe, v1
	v_cvt_u32_f32_e32 v1, v1
	v_readfirstlane_b32 s1, v1
	s_mul_i32 s7, s7, s1
	s_mul_hi_u32 s7, s1, s7
	s_add_i32 s1, s1, s7
	s_mul_hi_u32 s1, s6, s1
	s_mul_i32 s7, s1, s24
	s_add_i32 s19, s1, 1
	s_sub_i32 s7, s6, s7
	s_sub_i32 s22, s7, s24
	s_cmp_ge_u32 s7, s24
	s_cselect_b32 s1, s19, s1
	s_cselect_b32 s7, s22, s7
	s_add_i32 s19, s1, 1
	s_cmp_ge_u32 s7, s24
	s_cselect_b32 s22, s19, s1
.LBB0_6:
	s_load_dwordx2 s[2:3], s[2:3], 0x18
	s_mul_i32 s1, s18, s17
	s_mul_hi_u32 s7, s18, s16
	v_mul_u32_u24_e32 v1, 0xa3e, v0
	s_mul_i32 s16, s18, s16
	s_add_i32 s7, s7, s1
	s_sub_u32 s1, s6, s16
	s_subb_u32 s6, 0, s7
	v_lshrrev_b32_e32 v99, 16, v1
	s_mul_i32 s6, s6, 25
	s_mul_hi_u32 s7, s1, 25
	s_mul_i32 s17, s1, 25
	s_add_i32 s16, s7, s6
	s_mul_hi_u32 s6, s12, s17
	s_mul_i32 s1, s12, s16
	v_mul_lo_u16 v1, v99, 25
	s_add_i32 s1, s6, s1
	s_mul_i32 s18, s13, s17
	s_load_dwordx2 s[6:7], s[4:5], 0x0
	s_add_i32 s1, s1, s18
	s_waitcnt lgkmcnt(0)
	s_mul_i32 s18, s21, s0
	s_mul_hi_u32 s19, s20, s0
	s_mul_i32 s21, s12, s17
	s_mul_i32 s0, s20, s0
	v_sub_nc_u16 v33, v0, v1
	s_add_i32 s19, s19, s18
	s_mul_i32 s3, s3, s22
	s_mul_hi_u32 s18, s2, s22
	s_add_u32 s0, s0, s21
	s_mul_i32 s2, s2, s22
	s_addc_u32 s1, s19, s1
	s_add_i32 s18, s18, s3
	s_add_u32 s2, s2, s0
	s_addc_u32 s3, s18, s1
	v_and_b32_e32 v100, 0xffff, v33
	s_add_u32 s0, s17, 25
	s_addc_u32 s1, s16, 0
	v_add_nc_u32_e32 v35, 10, v99
	v_cmp_gt_u64_e64 s18, s[0:1], s[10:11]
	v_add_co_u32 v41, s17, s17, v100
	v_cmp_le_u64_e64 s1, s[0:1], s[10:11]
	v_add_co_ci_u32_e64 v42, null, s16, 0, s17
	v_add_nc_u32_e32 v36, 20, v99
	v_add_nc_u32_e32 v37, 30, v99
	;; [unrolled: 1-line block ×3, first 2 shown]
	s_and_b32 vcc_lo, exec_lo, s18
	s_mov_b32 s0, 0
	s_cbranch_vccnz .LBB0_8
; %bb.7:
	v_mad_u64_u32 v[1:2], null, s12, v100, 0
	v_mad_u64_u32 v[3:4], null, s8, v99, 0
	v_or_b32_e32 v12, 0x50, v99
	v_add_nc_u32_e32 v103, 10, v99
	v_add_nc_u32_e32 v14, 0x5a, v99
	s_lshl_b64 s[16:17], s[2:3], 3
	v_add_nc_u32_e32 v102, 20, v99
	s_add_u32 s16, s14, s16
	v_mad_u64_u32 v[5:6], null, s13, v100, v[2:3]
	v_mad_u64_u32 v[6:7], null, s8, v12, 0
	;; [unrolled: 1-line block ×4, first 2 shown]
	v_mov_b32_e32 v2, v5
	v_mad_u64_u32 v[4:5], null, s9, v99, v[4:5]
	v_mov_b32_e32 v5, v7
	s_addc_u32 s17, s15, s17
	v_lshlrev_b64 v[1:2], 3, v[1:2]
	v_add_nc_u32_e32 v101, 30, v99
	v_add_nc_u32_e32 v24, 0x6e, v99
	v_mad_u64_u32 v[12:13], null, s9, v12, v[5:6]
	v_mov_b32_e32 v5, v9
	v_add_co_u32 v46, vcc_lo, s16, v1
	v_add_co_ci_u32_e32 v47, vcc_lo, s17, v2, vcc_lo
	v_lshlrev_b64 v[1:2], 3, v[3:4]
	v_mov_b32_e32 v7, v12
	v_mad_u64_u32 v[3:4], null, s9, v103, v[5:6]
	v_mov_b32_e32 v4, v11
	v_mad_u64_u32 v[12:13], null, s8, v102, 0
	v_lshlrev_b64 v[5:6], 3, v[6:7]
	v_add_co_u32 v1, vcc_lo, v46, v1
	v_mov_b32_e32 v9, v3
	v_add_co_ci_u32_e32 v2, vcc_lo, v47, v2, vcc_lo
	v_mad_u64_u32 v[14:15], null, s9, v14, v[4:5]
	v_add_co_u32 v15, vcc_lo, v46, v5
	v_lshlrev_b64 v[4:5], 3, v[8:9]
	v_mov_b32_e32 v3, v13
	v_add_co_ci_u32_e32 v16, vcc_lo, v47, v6, vcc_lo
	v_mov_b32_e32 v11, v14
	v_add_nc_u32_e32 v14, 0x64, v99
	v_mad_u64_u32 v[6:7], null, s9, v102, v[3:4]
	v_mad_u64_u32 v[17:18], null, s8, v101, 0
	v_lshlrev_b64 v[7:8], 3, v[10:11]
	v_mad_u64_u32 v[9:10], null, s8, v14, 0
	v_add_co_u32 v3, vcc_lo, v46, v4
	v_mov_b32_e32 v13, v6
	v_mov_b32_e32 v6, v18
	v_add_co_ci_u32_e32 v4, vcc_lo, v47, v5, vcc_lo
	v_mov_b32_e32 v5, v10
	v_lshlrev_b64 v[11:12], 3, v[12:13]
	v_mad_u64_u32 v[21:22], null, s9, v101, v[6:7]
	v_mad_u64_u32 v[22:23], null, s8, v24, 0
	;; [unrolled: 1-line block ×3, first 2 shown]
	v_add_co_u32 v19, vcc_lo, v46, v7
	v_mov_b32_e32 v18, v21
	v_add_nc_u32_e32 v34, 40, v99
	v_add_co_ci_u32_e32 v20, vcc_lo, v47, v8, vcc_lo
	v_mov_b32_e32 v10, v13
	v_mov_b32_e32 v13, v23
	s_clause 0x3
	global_load_dwordx2 v[5:6], v[1:2], off
	global_load_dwordx2 v[7:8], v[15:16], off
	global_load_dwordx2 v[3:4], v[3:4], off
	global_load_dwordx2 v[1:2], v[19:20], off
	v_add_co_u32 v11, vcc_lo, v46, v11
	v_lshlrev_b64 v[9:10], 3, v[9:10]
	v_mad_u64_u32 v[13:14], null, s9, v24, v[13:14]
	v_lshlrev_b64 v[14:15], 3, v[17:18]
	v_mad_u64_u32 v[17:18], null, s8, v34, 0
	v_add_co_ci_u32_e32 v12, vcc_lo, v47, v12, vcc_lo
	v_add_co_u32 v9, vcc_lo, v46, v9
	v_mov_b32_e32 v23, v13
	v_add_nc_u32_e32 v16, 0x78, v99
	v_add_co_ci_u32_e32 v10, vcc_lo, v47, v10, vcc_lo
	v_add_co_u32 v19, vcc_lo, v46, v14
	v_add_co_ci_u32_e32 v20, vcc_lo, v47, v15, vcc_lo
	v_lshlrev_b64 v[14:15], 3, v[22:23]
	v_mov_b32_e32 v13, v18
	v_mad_u64_u32 v[21:22], null, s8, v16, 0
	v_add_nc_u32_e32 v28, 50, v99
	v_add_nc_u32_e32 v32, 0x8c, v99
	v_mad_u64_u32 v[23:24], null, s9, v34, v[13:14]
	v_add_co_u32 v24, vcc_lo, v46, v14
	v_mad_u64_u32 v[26:27], null, s8, v28, 0
	v_mov_b32_e32 v13, v22
	v_add_co_ci_u32_e32 v25, vcc_lo, v47, v15, vcc_lo
	v_mov_b32_e32 v18, v23
	v_mad_u64_u32 v[30:31], null, s8, v32, 0
	v_mad_u64_u32 v[22:23], null, s9, v16, v[13:14]
	s_clause 0x3
	global_load_dwordx2 v[13:14], v[11:12], off
	global_load_dwordx2 v[15:16], v[9:10], off
	;; [unrolled: 1-line block ×4, first 2 shown]
	v_mov_b32_e32 v19, v27
	v_add_nc_u32_e32 v25, 0x82, v99
	v_lshlrev_b64 v[17:18], 3, v[17:18]
	v_add_nc_u32_e32 v45, 0x96, v99
	v_mad_u64_u32 v[19:20], null, s9, v28, v[19:20]
	v_mad_u64_u32 v[23:24], null, s8, v25, 0
	v_lshlrev_b64 v[20:21], 3, v[21:22]
	v_add_nc_u32_e32 v22, 60, v99
	v_add_co_u32 v17, vcc_lo, v46, v17
	v_mov_b32_e32 v27, v19
	v_add_co_ci_u32_e32 v18, vcc_lo, v47, v18, vcc_lo
	v_mad_u64_u32 v[28:29], null, s8, v22, 0
	v_mov_b32_e32 v19, v24
	v_mad_u64_u32 v[43:44], null, s8, v45, 0
	v_mad_u64_u32 v[24:25], null, s9, v25, v[19:20]
	v_add_co_u32 v19, vcc_lo, v46, v20
	v_lshlrev_b64 v[25:26], 3, v[26:27]
	v_add_nc_u32_e32 v27, 0x46, v99
	v_add_co_ci_u32_e32 v20, vcc_lo, v47, v21, vcc_lo
	v_mov_b32_e32 v21, v29
	v_mad_u64_u32 v[39:40], null, s8, v27, 0
	v_add_co_u32 v25, vcc_lo, v46, v25
	v_mad_u64_u32 v[21:22], null, s9, v22, v[21:22]
	v_mov_b32_e32 v22, v31
	v_add_co_ci_u32_e32 v26, vcc_lo, v47, v26, vcc_lo
	v_mad_u64_u32 v[31:32], null, s9, v32, v[22:23]
	v_lshlrev_b64 v[23:24], 3, v[23:24]
	v_mov_b32_e32 v22, v40
	v_mov_b32_e32 v29, v21
	v_mad_u64_u32 v[21:22], null, s9, v27, v[22:23]
	v_mov_b32_e32 v22, v44
	v_add_co_u32 v23, vcc_lo, v46, v23
	v_lshlrev_b64 v[27:28], 3, v[28:29]
	v_lshlrev_b64 v[29:30], 3, v[30:31]
	v_add_co_ci_u32_e32 v24, vcc_lo, v47, v24, vcc_lo
	v_mad_u64_u32 v[44:45], null, s9, v45, v[22:23]
	v_mov_b32_e32 v40, v21
	v_add_co_u32 v21, vcc_lo, v46, v27
	v_add_co_ci_u32_e32 v22, vcc_lo, v47, v28, vcc_lo
	v_lshlrev_b64 v[27:28], 3, v[39:40]
	v_add_co_u32 v39, vcc_lo, v46, v29
	v_add_co_ci_u32_e32 v40, vcc_lo, v47, v30, vcc_lo
	v_lshlrev_b64 v[29:30], 3, v[43:44]
	v_add_co_u32 v43, vcc_lo, v46, v27
	v_add_co_ci_u32_e32 v44, vcc_lo, v47, v28, vcc_lo
	v_add_co_u32 v45, vcc_lo, v46, v29
	v_add_co_ci_u32_e32 v46, vcc_lo, v47, v30, vcc_lo
	s_clause 0x7
	global_load_dwordx2 v[29:30], v[17:18], off
	global_load_dwordx2 v[31:32], v[19:20], off
	;; [unrolled: 1-line block ×8, first 2 shown]
	s_andn2_b32 vcc_lo, exec_lo, s0
	s_cbranch_vccz .LBB0_9
	s_branch .LBB0_14
.LBB0_8:
                                        ; implicit-def: $vgpr1
                                        ; implicit-def: $vgpr9
                                        ; implicit-def: $vgpr23
                                        ; implicit-def: $vgpr19
                                        ; implicit-def: $vgpr17
                                        ; implicit-def: $vgpr27
                                        ; implicit-def: $vgpr21
                                        ; implicit-def: $vgpr25
                                        ; implicit-def: $vgpr31
                                        ; implicit-def: $vgpr29
                                        ; implicit-def: $vgpr11
                                        ; implicit-def: $vgpr15
                                        ; implicit-def: $vgpr13
                                        ; implicit-def: $vgpr3
                                        ; implicit-def: $vgpr7
                                        ; implicit-def: $vgpr5
                                        ; implicit-def: $vgpr103
                                        ; implicit-def: $vgpr102
                                        ; implicit-def: $vgpr101
                                        ; implicit-def: $vgpr34
.LBB0_9:
	s_mov_b32 s0, exec_lo
                                        ; implicit-def: $vgpr103
                                        ; implicit-def: $vgpr102
                                        ; implicit-def: $vgpr101
                                        ; implicit-def: $vgpr34
	v_cmpx_le_u64_e64 s[10:11], v[41:42]
	s_xor_b32 s0, exec_lo, s0
; %bb.10:
	v_add_nc_u32_e32 v103, 10, v99
	v_add_nc_u32_e32 v102, 20, v99
	;; [unrolled: 1-line block ×4, first 2 shown]
                                        ; implicit-def: $vgpr35
                                        ; implicit-def: $vgpr36
                                        ; implicit-def: $vgpr37
                                        ; implicit-def: $vgpr38
; %bb.11:
	s_or_saveexec_b32 s0, s0
                                        ; implicit-def: $vgpr1
                                        ; implicit-def: $vgpr9
                                        ; implicit-def: $vgpr23
                                        ; implicit-def: $vgpr19
                                        ; implicit-def: $vgpr17
                                        ; implicit-def: $vgpr27
                                        ; implicit-def: $vgpr21
                                        ; implicit-def: $vgpr25
                                        ; implicit-def: $vgpr31
                                        ; implicit-def: $vgpr29
                                        ; implicit-def: $vgpr11
                                        ; implicit-def: $vgpr15
                                        ; implicit-def: $vgpr13
                                        ; implicit-def: $vgpr3
                                        ; implicit-def: $vgpr7
                                        ; implicit-def: $vgpr5
	s_xor_b32 exec_lo, exec_lo, s0
	s_cbranch_execz .LBB0_13
; %bb.12:
	s_waitcnt vmcnt(12)
	v_mad_u64_u32 v[1:2], null, s12, v100, 0
	v_mad_u64_u32 v[3:4], null, s8, v99, 0
	s_waitcnt vmcnt(9)
	v_or_b32_e32 v12, 0x50, v99
	v_add_nc_u32_e32 v13, 0x5a, v99
	s_lshl_b64 s[16:17], s[2:3], 3
	s_waitcnt vmcnt(3)
	v_add_nc_u32_e32 v21, 0x64, v99
	s_add_u32 s16, s14, s16
	v_mad_u64_u32 v[5:6], null, s8, v12, 0
	v_mad_u64_u32 v[7:8], null, s13, v100, v[2:3]
	v_mov_b32_e32 v2, v4
	v_mad_u64_u32 v[8:9], null, s8, v35, 0
	s_addc_u32 s17, s15, s17
	v_mov_b32_e32 v4, v6
	v_mad_u64_u32 v[10:11], null, s9, v99, v[2:3]
	v_mov_b32_e32 v2, v7
	v_mad_u64_u32 v[15:16], null, s8, v37, 0
	v_mad_u64_u32 v[6:7], null, s9, v12, v[4:5]
	v_lshlrev_b64 v[1:2], 3, v[1:2]
	v_mad_u64_u32 v[11:12], null, s8, v13, 0
	v_mov_b32_e32 v4, v10
	v_mov_b32_e32 v7, v9
	v_add_nc_u32_e32 v24, 0x6e, v99
	v_add_co_u32 v34, vcc_lo, s16, v1
	v_add_co_ci_u32_e32 v46, vcc_lo, s17, v2, vcc_lo
	v_lshlrev_b64 v[1:2], 3, v[3:4]
	v_lshlrev_b64 v[4:5], 3, v[5:6]
	v_mov_b32_e32 v3, v12
	v_mad_u64_u32 v[6:7], null, s9, v35, v[7:8]
	s_waitcnt vmcnt(2)
	v_add_nc_u32_e32 v27, 0x78, v99
	v_add_co_u32 v1, vcc_lo, v34, v1
	v_mad_u64_u32 v[12:13], null, s9, v13, v[3:4]
	v_mad_u64_u32 v[13:14], null, s8, v36, 0
	v_mov_b32_e32 v9, v6
	v_add_co_ci_u32_e32 v2, vcc_lo, v46, v2, vcc_lo
	v_add_co_u32 v3, vcc_lo, v34, v4
	v_lshlrev_b64 v[6:7], 3, v[8:9]
	v_add_co_ci_u32_e32 v4, vcc_lo, v46, v5, vcc_lo
	v_mov_b32_e32 v5, v14
	v_lshlrev_b64 v[8:9], 3, v[11:12]
	v_add_nc_u32_e32 v28, 50, v99
	s_waitcnt vmcnt(1)
	v_add_co_u32 v17, vcc_lo, v34, v6
	v_mad_u64_u32 v[10:11], null, s9, v36, v[5:6]
	v_mad_u64_u32 v[11:12], null, s8, v21, 0
	v_mov_b32_e32 v6, v16
	v_add_co_ci_u32_e32 v18, vcc_lo, v46, v7, vcc_lo
	s_waitcnt vmcnt(0)
	v_add_co_u32 v19, vcc_lo, v34, v8
	v_add_co_ci_u32_e32 v20, vcc_lo, v46, v9, vcc_lo
	v_mov_b32_e32 v5, v12
	v_mov_b32_e32 v14, v10
	v_mad_u64_u32 v[25:26], null, s8, v28, 0
	v_add_nc_u32_e32 v29, 0x82, v99
	v_mad_u64_u32 v[9:10], null, s9, v21, v[5:6]
	v_mad_u64_u32 v[21:22], null, s9, v37, v[6:7]
	;; [unrolled: 1-line block ×3, first 2 shown]
	v_lshlrev_b64 v[13:14], 3, v[13:14]
	s_clause 0x3
	global_load_dwordx2 v[5:6], v[1:2], off
	global_load_dwordx2 v[7:8], v[3:4], off
	;; [unrolled: 1-line block ×4, first 2 shown]
	v_mov_b32_e32 v12, v9
	v_add_nc_u32_e32 v31, 60, v99
	v_mov_b32_e32 v16, v21
	v_mad_u64_u32 v[20:21], null, s8, v27, 0
	v_lshlrev_b64 v[10:11], 3, v[11:12]
	v_mov_b32_e32 v9, v23
	v_add_co_u32 v13, vcc_lo, v34, v13
	v_lshlrev_b64 v[15:16], 3, v[15:16]
	v_add_co_ci_u32_e32 v14, vcc_lo, v46, v14, vcc_lo
	v_mad_u64_u32 v[17:18], null, s9, v24, v[9:10]
	v_mad_u64_u32 v[18:19], null, s8, v38, 0
	v_add_co_u32 v9, vcc_lo, v34, v10
	v_add_co_ci_u32_e32 v10, vcc_lo, v46, v11, vcc_lo
	v_mov_b32_e32 v23, v17
	v_add_co_u32 v11, vcc_lo, v34, v15
	v_add_co_ci_u32_e32 v12, vcc_lo, v46, v16, vcc_lo
	v_lshlrev_b64 v[16:17], 3, v[22:23]
	v_mov_b32_e32 v15, v19
	v_add_nc_u32_e32 v39, 0x8c, v99
	v_add_nc_u32_e32 v45, 0x46, v99
	;; [unrolled: 1-line block ×3, first 2 shown]
	v_mov_b32_e32 v103, v35
	v_mad_u64_u32 v[22:23], null, s9, v38, v[15:16]
	v_add_co_u32 v23, vcc_lo, v34, v16
	v_mov_b32_e32 v15, v21
	v_add_co_ci_u32_e32 v24, vcc_lo, v46, v17, vcc_lo
	v_mov_b32_e32 v17, v26
	v_mov_b32_e32 v19, v22
	v_mad_u64_u32 v[21:22], null, s9, v27, v[15:16]
	s_clause 0x3
	global_load_dwordx2 v[13:14], v[13:14], off
	global_load_dwordx2 v[15:16], v[9:10], off
	;; [unrolled: 1-line block ×4, first 2 shown]
	v_mad_u64_u32 v[43:44], null, s8, v47, 0
	v_lshlrev_b64 v[18:19], 3, v[18:19]
	v_mov_b32_e32 v102, v36
	v_mov_b32_e32 v101, v37
	v_mad_u64_u32 v[22:23], null, s9, v28, v[17:18]
	v_mad_u64_u32 v[23:24], null, s8, v29, 0
	v_add_co_u32 v17, vcc_lo, v34, v18
	v_add_co_ci_u32_e32 v18, vcc_lo, v46, v19, vcc_lo
	v_lshlrev_b64 v[19:20], 3, v[20:21]
	v_mad_u64_u32 v[27:28], null, s8, v31, 0
	v_mov_b32_e32 v21, v24
	v_mov_b32_e32 v26, v22
	v_add_co_u32 v19, vcc_lo, v34, v19
	v_mad_u64_u32 v[21:22], null, s9, v29, v[21:22]
	v_mad_u64_u32 v[29:30], null, s8, v39, 0
	v_mov_b32_e32 v22, v28
	v_lshlrev_b64 v[25:26], 3, v[25:26]
	v_add_co_ci_u32_e32 v20, vcc_lo, v46, v20, vcc_lo
	v_mov_b32_e32 v24, v21
	v_mad_u64_u32 v[21:22], null, s9, v31, v[22:23]
	v_mad_u64_u32 v[31:32], null, s8, v45, 0
	v_mov_b32_e32 v22, v30
	v_add_co_u32 v25, vcc_lo, v34, v25
	v_add_co_ci_u32_e32 v26, vcc_lo, v46, v26, vcc_lo
	v_mad_u64_u32 v[39:40], null, s9, v39, v[22:23]
	v_lshlrev_b64 v[23:24], 3, v[23:24]
	v_mov_b32_e32 v22, v32
	v_mov_b32_e32 v28, v21
	v_mad_u64_u32 v[21:22], null, s9, v45, v[22:23]
	v_mov_b32_e32 v22, v44
	v_add_co_u32 v23, vcc_lo, v34, v23
	v_mov_b32_e32 v30, v39
	v_lshlrev_b64 v[27:28], 3, v[27:28]
	v_add_co_ci_u32_e32 v24, vcc_lo, v46, v24, vcc_lo
	v_mad_u64_u32 v[39:40], null, s9, v47, v[22:23]
	v_lshlrev_b64 v[29:30], 3, v[29:30]
	v_mov_b32_e32 v32, v21
	v_add_co_u32 v21, vcc_lo, v34, v27
	v_add_co_ci_u32_e32 v22, vcc_lo, v46, v28, vcc_lo
	v_mov_b32_e32 v44, v39
	v_lshlrev_b64 v[27:28], 3, v[31:32]
	v_add_co_u32 v39, vcc_lo, v34, v29
	v_add_co_ci_u32_e32 v40, vcc_lo, v46, v30, vcc_lo
	v_lshlrev_b64 v[29:30], 3, v[43:44]
	v_add_co_u32 v43, vcc_lo, v34, v27
	v_add_co_ci_u32_e32 v44, vcc_lo, v46, v28, vcc_lo
	v_add_co_u32 v45, vcc_lo, v34, v29
	v_add_co_ci_u32_e32 v46, vcc_lo, v46, v30, vcc_lo
	s_clause 0x7
	global_load_dwordx2 v[29:30], v[17:18], off
	global_load_dwordx2 v[31:32], v[19:20], off
	;; [unrolled: 1-line block ×8, first 2 shown]
	v_mov_b32_e32 v34, v38
.LBB0_13:
	s_or_b32 exec_lo, exec_lo, s0
.LBB0_14:
	s_waitcnt vmcnt(14)
	v_sub_f32_e32 v36, v6, v8
	s_waitcnt vmcnt(8)
	v_sub_f32_e32 v8, v11, v9
	v_sub_f32_e32 v9, v12, v10
	v_mov_b32_e32 v106, 3
	v_sub_f32_e32 v35, v5, v7
	v_sub_f32_e32 v1, v3, v1
	;; [unrolled: 1-line block ×3, first 2 shown]
	s_waitcnt vmcnt(6)
	v_sub_f32_e32 v10, v29, v31
	v_fma_f32 v31, v11, 2.0, -v8
	v_sub_f32_e32 v11, v30, v32
	v_fma_f32 v32, v12, 2.0, -v9
	v_mul_u32_u24_e32 v12, 0x190, v99
	v_lshlrev_b32_sdwa v7, v106, v33 dst_sel:DWORD dst_unused:UNUSED_PAD src0_sel:DWORD src1_sel:WORD_0
	v_mul_i32_i24_e32 v33, 0x190, v103
	v_sub_f32_e32 v15, v13, v15
	v_sub_f32_e32 v16, v14, v16
	v_mul_i32_i24_e32 v37, 0x190, v102
	v_fma_f32 v5, v5, 2.0, -v35
	v_fma_f32 v6, v6, 2.0, -v36
	;; [unrolled: 1-line block ×4, first 2 shown]
	v_add3_u32 v12, 0, v12, v7
	v_add3_u32 v33, 0, v33, v7
	v_fma_f32 v13, v13, 2.0, -v15
	v_fma_f32 v14, v14, 2.0, -v16
	v_add3_u32 v37, 0, v37, v7
	v_mul_i32_i24_e32 v38, 0x190, v101
	ds_write2_b64 v12, v[5:6], v[35:36] offset1:25
	ds_write2_b64 v33, v[3:4], v[1:2] offset1:25
	;; [unrolled: 1-line block ×3, first 2 shown]
	v_and_b32_e32 v13, 1, v99
	s_waitcnt vmcnt(0)
	v_sub_f32_e32 v19, v17, v19
	v_sub_f32_e32 v20, v18, v20
	v_add3_u32 v5, 0, v38, v7
	v_mul_i32_i24_e32 v6, 0x190, v34
	v_mul_u32_u24_e32 v3, 3, v13
	v_sub_f32_e32 v23, v25, v23
	v_sub_f32_e32 v24, v26, v24
	;; [unrolled: 1-line block ×4, first 2 shown]
	v_fma_f32 v29, v29, 2.0, -v10
	v_fma_f32 v30, v30, 2.0, -v11
	;; [unrolled: 1-line block ×4, first 2 shown]
	ds_write2_b64 v5, v[31:32], v[8:9] offset1:25
	v_add3_u32 v8, 0, v6, v7
	v_add_nc_u32_e32 v4, 0x6800, v12
	v_lshlrev_b32_e32 v5, 3, v3
	v_fma_f32 v25, v25, 2.0, -v23
	v_fma_f32 v26, v26, 2.0, -v24
	v_add_nc_u32_e32 v1, 0x4800, v12
	v_fma_f32 v21, v21, 2.0, -v27
	v_fma_f32 v22, v22, 2.0, -v28
	v_add_nc_u32_e32 v2, 0x5800, v12
	ds_write2_b64 v8, v[29:30], v[10:11] offset1:25
	ds_write2_b64 v1, v[25:26], v[23:24] offset0:196 offset1:221
	ds_write2_b64 v2, v[21:22], v[27:28] offset0:184 offset1:209
	;; [unrolled: 1-line block ×3, first 2 shown]
	s_waitcnt lgkmcnt(0)
	s_barrier
	buffer_gl0_inv
	s_clause 0x1
	global_load_dwordx4 v[1:4], v5, s[6:7]
	global_load_dwordx2 v[5:6], v5, s[6:7] offset:16
	v_mul_u32_u24_e32 v9, 0xc8, v99
	v_lshlrev_b32_e32 v17, 2, v99
	v_lshlrev_b32_e32 v105, 2, v103
	;; [unrolled: 1-line block ×4, first 2 shown]
	v_mul_i32_i24_e32 v12, 0xc8, v101
	v_and_or_b32 v14, v17, 56, v13
	v_and_or_b32 v15, 0x7ff8, v105, v13
	;; [unrolled: 1-line block ×4, first 2 shown]
	v_add3_u32 v18, 0, v9, v7
	v_and_b32_e32 v16, 7, v99
	v_and_b32_e32 v40, 7, v103
	v_mul_i32_i24_e32 v10, 0xc8, v103
	v_mul_i32_i24_e32 v11, 0xc8, v102
	v_add3_u32 v19, 0, v12, v7
	v_mul_u32_u24_e32 v12, 0xc8, v14
	v_mul_u32_u24_e32 v26, 0xc8, v13
	v_add_nc_u32_e32 v9, 0x3e80, v18
	v_add_nc_u32_e32 v13, 0x2ec0, v18
	v_mul_u32_u24_e32 v23, 3, v16
	v_mul_u32_u24_e32 v24, 3, v40
	;; [unrolled: 1-line block ×4, first 2 shown]
	v_add_nc_u32_e32 v59, 0x4e00, v18
	v_add3_u32 v20, 0, v10, v7
	v_add3_u32 v21, 0, v11, v7
	v_mad_i32_i24 v55, 0xffffff38, v34, v8
	v_add_nc_u32_e32 v61, 0x5dc0, v18
	ds_read2_b64 v[8:11], v9 offset1:250
	v_add3_u32 v54, 0, v12, v7
	ds_read2_b64 v[12:15], v13 offset0:4 offset1:254
	v_add_nc_u32_e32 v30, 0x2400, v18
	v_lshlrev_b32_e32 v52, 3, v23
	v_lshlrev_b32_e32 v53, 3, v24
	v_add_nc_u32_e32 v62, 0x6d40, v18
	v_add3_u32 v56, 0, v25, v7
	v_add3_u32 v57, 0, v22, v7
	;; [unrolled: 1-line block ×3, first 2 shown]
	ds_read2_b64 v[22:25], v59 offset0:4 offset1:254
	ds_read_b64 v[34:35], v18
	ds_read2_b64 v[26:29], v61 offset1:250
	ds_read_b64 v[36:37], v20
	ds_read_b64 v[38:39], v55
	ds_read2_b32 v[43:44], v30 offset0:196 offset1:197
	ds_read2_b64 v[30:33], v62 offset0:4 offset1:254
	ds_read_b64 v[45:46], v19
	ds_read_b64 v[47:48], v21
	v_and_b32_e32 v49, 7, v102
	v_and_b32_e32 v50, 7, v101
	s_waitcnt vmcnt(0) lgkmcnt(0)
	s_barrier
	buffer_gl0_inv
	v_mul_u32_u24_e32 v51, 3, v49
	v_and_or_b32 v16, v17, 32, v16
	v_cmp_gt_u32_e64 s0, 50, v0
	s_mov_b32 s16, 0
	v_mul_u32_u24_e32 v16, 0xc8, v16
	v_mul_f32_e32 v60, v4, v9
	v_mul_f32_e32 v63, v4, v8
	;; [unrolled: 1-line block ×24, first 2 shown]
	v_fmac_f32_e32 v60, v3, v8
	v_fma_f32 v8, v3, v9, -v63
	v_fmac_f32_e32 v64, v10, v3
	v_fma_f32 v9, v11, v3, -v65
	;; [unrolled: 2-line block ×12, first 2 shown]
	v_sub_f32_e32 v15, v34, v60
	v_sub_f32_e32 v22, v35, v8
	;; [unrolled: 1-line block ×16, first 2 shown]
	v_fma_f32 v32, v34, 2.0, -v15
	v_fma_f32 v33, v35, 2.0, -v22
	;; [unrolled: 1-line block ×4, first 2 shown]
	v_add_f32_e32 v1, v15, v1
	v_fma_f32 v35, v36, 2.0, -v23
	v_fma_f32 v36, v37, 2.0, -v24
	;; [unrolled: 1-line block ×4, first 2 shown]
	v_sub_f32_e32 v2, v22, v6
	v_add_f32_e32 v3, v23, v9
	v_sub_f32_e32 v4, v24, v8
	v_fma_f32 v39, v47, 2.0, -v26
	v_fma_f32 v43, v48, 2.0, -v27
	;; [unrolled: 1-line block ×8, first 2 shown]
	v_sub_f32_e32 v10, v32, v29
	v_sub_f32_e32 v11, v33, v34
	v_add_f32_e32 v5, v26, v14
	v_sub_f32_e32 v6, v27, v12
	v_fma_f32 v12, v15, 2.0, -v1
	v_sub_f32_e32 v14, v35, v37
	v_sub_f32_e32 v15, v36, v38
	;; [unrolled: 1-line block ×3, first 2 shown]
	v_fma_f32 v13, v22, 2.0, -v2
	v_fma_f32 v22, v23, 2.0, -v3
	;; [unrolled: 1-line block ×3, first 2 shown]
	v_sub_f32_e32 v24, v39, v44
	v_sub_f32_e32 v25, v43, v47
	v_add_f32_e32 v8, v30, v28
	v_sub_f32_e32 v28, v45, v48
	v_sub_f32_e32 v29, v46, v60
	v_fma_f32 v32, v32, 2.0, -v10
	v_fma_f32 v33, v33, 2.0, -v11
	;; [unrolled: 1-line block ×12, first 2 shown]
	ds_write2_b64 v54, v[10:11], v[1:2] offset0:100 offset1:150
	ds_write2_b64 v54, v[32:33], v[12:13] offset1:50
	ds_write2_b64 v56, v[34:35], v[22:23] offset1:50
	ds_write2_b64 v56, v[14:15], v[3:4] offset0:100 offset1:150
	ds_write2_b64 v57, v[36:37], v[26:27] offset1:50
	ds_write2_b64 v57, v[24:25], v[5:6] offset0:100 offset1:150
	;; [unrolled: 2-line block ×3, first 2 shown]
	v_mul_u32_u24_e32 v5, 3, v50
	v_lshlrev_b32_e32 v26, 3, v51
	s_waitcnt lgkmcnt(0)
	s_barrier
	buffer_gl0_inv
	v_lshlrev_b32_e32 v27, 3, v5
	s_clause 0x7
	global_load_dwordx4 v[1:4], v52, s[6:7] offset:48
	global_load_dwordx4 v[8:11], v53, s[6:7] offset:48
	;; [unrolled: 1-line block ×4, first 2 shown]
	global_load_dwordx2 v[5:6], v52, s[6:7] offset:64
	global_load_dwordx2 v[38:39], v53, s[6:7] offset:64
	;; [unrolled: 1-line block ×4, first 2 shown]
	v_and_or_b32 v26, 0x7fe0, v105, v40
	v_and_or_b32 v27, 0x7fe0, v104, v49
	;; [unrolled: 1-line block ×3, first 2 shown]
	v_add_nc_u32_e32 v29, 0x36a0, v18
	v_add_nc_u32_e32 v30, 0x2700, v18
	v_mul_u32_u24_e32 v26, 0xc8, v26
	v_mul_u32_u24_e32 v27, 0xc8, v27
	;; [unrolled: 1-line block ×3, first 2 shown]
	v_add_nc_u32_e32 v34, 0x4400, v18
	ds_read_b64 v[55:56], v55
	v_add3_u32 v67, 0, v26, v7
	v_add3_u32 v68, 0, v27, v7
	;; [unrolled: 1-line block ×3, first 2 shown]
	ds_read2_b64 v[26:29], v29 offset0:2 offset1:252
	ds_read2_b64 v[30:33], v30 offset0:2 offset1:252
	ds_read2_b32 v[57:58], v34 offset0:148 offset1:149
	ds_read2_b64 v[34:37], v59 offset0:4 offset1:254
	ds_read_b64 v[59:60], v20
	ds_read2_b64 v[43:46], v61 offset1:250
	ds_read2_b64 v[47:50], v62 offset0:4 offset1:254
	ds_read_b64 v[61:62], v19
	ds_read_b64 v[63:64], v18
	;; [unrolled: 1-line block ×3, first 2 shown]
	v_add3_u32 v40, 0, v16, v7
	v_add_nc_u32_e32 v70, 0x1900, v18
	v_add_nc_u32_e32 v71, 0x3200, v18
	;; [unrolled: 1-line block ×8, first 2 shown]
	s_waitcnt vmcnt(0) lgkmcnt(0)
	s_barrier
	buffer_gl0_inv
	v_mul_f32_e32 v80, v33, v13
	v_mul_f32_e32 v13, v32, v13
	;; [unrolled: 1-line block ×24, first 2 shown]
	v_fmac_f32_e32 v7, v1, v55
	v_fma_f32 v1, v1, v56, -v2
	v_fmac_f32_e32 v16, v3, v28
	v_fma_f32 v2, v3, v29, -v4
	;; [unrolled: 2-line block ×12, first 2 shown]
	v_sub_f32_e32 v14, v63, v16
	v_sub_f32_e32 v15, v64, v2
	;; [unrolled: 1-line block ×16, first 2 shown]
	v_fma_f32 v28, v63, 2.0, -v14
	v_fma_f32 v29, v64, 2.0, -v15
	;; [unrolled: 1-line block ×8, first 2 shown]
	v_sub_f32_e32 v2, v15, v2
	v_add_f32_e32 v3, v16, v6
	v_fma_f32 v34, v65, 2.0, -v23
	v_fma_f32 v35, v66, 2.0, -v24
	;; [unrolled: 1-line block ×4, first 2 shown]
	v_add_f32_e32 v1, v14, v5
	v_sub_f32_e32 v4, v22, v4
	v_add_f32_e32 v5, v23, v12
	v_sub_f32_e32 v6, v24, v9
	v_fma_f32 v38, v61, 2.0, -v26
	v_fma_f32 v39, v62, 2.0, -v27
	;; [unrolled: 1-line block ×4, first 2 shown]
	v_sub_f32_e32 v7, v28, v7
	v_sub_f32_e32 v8, v29, v25
	;; [unrolled: 1-line block ×5, first 2 shown]
	v_add_f32_e32 v43, v26, v13
	v_fma_f32 v10, v15, 2.0, -v2
	v_fma_f32 v13, v16, 2.0, -v3
	v_sub_f32_e32 v15, v34, v36
	v_sub_f32_e32 v16, v35, v37
	v_fma_f32 v9, v14, 2.0, -v1
	v_fma_f32 v14, v22, 2.0, -v4
	;; [unrolled: 1-line block ×4, first 2 shown]
	v_sub_f32_e32 v24, v38, v45
	v_sub_f32_e32 v25, v39, v46
	v_fma_f32 v28, v28, 2.0, -v7
	v_fma_f32 v29, v29, 2.0, -v8
	;; [unrolled: 1-line block ×10, first 2 shown]
	ds_write2_b64 v74, v[7:8], v[1:2] offset0:16 offset1:216
	ds_write2_b64 v40, v[28:29], v[9:10] offset1:200
	ds_write2_b64 v67, v[30:31], v[13:14] offset1:200
	ds_write2_b64 v75, v[11:12], v[3:4] offset0:16 offset1:216
	ds_write2_b64 v68, v[32:33], v[22:23] offset1:200
	ds_write2_b64 v76, v[15:16], v[5:6] offset0:16 offset1:216
	;; [unrolled: 2-line block ×3, first 2 shown]
	s_waitcnt lgkmcnt(0)
	s_barrier
	buffer_gl0_inv
	ds_read2_b64 v[13:16], v70 offset1:250
	ds_read2_b64 v[9:12], v71 offset1:250
	;; [unrolled: 1-line block ×4, first 2 shown]
	ds_read_b64 v[55:56], v18
	ds_read_b64 v[65:66], v18 offset:10400
	ds_read_b64 v[63:64], v18 offset:16800
	;; [unrolled: 1-line block ×3, first 2 shown]
	ds_read_b64 v[53:54], v21
	ds_read_b64 v[57:58], v20
	ds_read_b64 v[59:60], v18 offset:29600
                                        ; implicit-def: $vgpr48
                                        ; implicit-def: $vgpr46
                                        ; implicit-def: $vgpr52
                                        ; implicit-def: $vgpr50
	s_and_saveexec_b32 s17, s0
	s_cbranch_execz .LBB0_16
; %bb.15:
	ds_read_b64 v[43:44], v19
	ds_read_b64 v[49:50], v18 offset:12400
	ds_read_b64 v[51:52], v18 offset:18800
	ds_read_b64 v[45:46], v18 offset:25200
	ds_read_b64 v[47:48], v18 offset:31600
.LBB0_16:
	s_or_b32 exec_lo, exec_lo, s17
	v_and_b32_e32 v17, 60, v17
	v_and_b32_e32 v18, 0x7c, v105
	s_load_dwordx2 s[4:5], s[4:5], 0x8
	v_and_b32_e32 v33, 0x7c, v104
	v_or_b32_e32 v34, 32, v99
	v_lshlrev_b32_e32 v17, 3, v17
	v_lshlrev_b32_e32 v18, 3, v18
	v_mul_lo_u32 v37, v41, v99
	v_and_b32_e32 v39, 31, v103
	v_and_b32_e32 v116, 31, v102
	s_clause 0x3
	global_load_dwordx4 v[29:32], v17, s[6:7] offset:240
	global_load_dwordx4 v[25:28], v18, s[6:7] offset:240
	;; [unrolled: 1-line block ×4, first 2 shown]
	v_or_b32_e32 v35, 64, v99
	v_or_b32_e32 v36, 0x60, v99
	v_lshlrev_b32_e32 v40, 3, v33
	v_mul_lo_u32 v67, v41, v34
	v_or_b32_e32 v73, 32, v116
	v_or_b32_e32 v75, 64, v39
	v_bfe_u32 v79, v37, 8, 8
	v_or_b32_e32 v38, 0x80, v99
	v_mul_lo_u32 v68, v41, v35
	v_mul_lo_u32 v69, v41, v36
	global_load_dwordx4 v[33:36], v40, s[6:7] offset:240
	v_or_b32_e32 v74, 32, v39
	v_or_b32_e32 v76, 0x60, v39
	v_or_b32_e32 v77, 0x80, v39
	v_lshlrev_b32_sdwa v80, v106, v37 dst_sel:DWORD dst_unused:UNUSED_PAD src0_sel:DWORD src1_sel:BYTE_0
	v_mul_lo_u32 v81, v41, v73
	v_mul_lo_u32 v83, v41, v75
	v_bfe_u32 v75, v67, 8, 8
	v_lshl_or_b32 v73, v79, 3, 0x800
	v_mul_lo_u32 v70, v41, v38
	v_mul_lo_u32 v71, v41, v39
	v_or_b32_e32 v78, 64, v116
	global_load_dwordx4 v[37:40], v40, s[6:7] offset:256
	v_mul_lo_u32 v82, v41, v74
	v_mul_lo_u32 v84, v41, v76
	;; [unrolled: 1-line block ×3, first 2 shown]
	v_lshlrev_b32_sdwa v76, v106, v67 dst_sel:DWORD dst_unused:UNUSED_PAD src0_sel:DWORD src1_sel:BYTE_0
	v_bfe_u32 v77, v68, 8, 8
	v_lshlrev_b32_sdwa v79, v106, v68 dst_sel:DWORD dst_unused:UNUSED_PAD src0_sel:DWORD src1_sel:BYTE_0
	s_waitcnt lgkmcnt(0)
	s_clause 0x1
	global_load_dwordx2 v[67:68], v80, s[4:5]
	global_load_dwordx2 v[73:74], v73, s[4:5]
	v_mul_lo_u32 v72, v41, v116
	v_lshl_or_b32 v75, v75, 3, 0x800
	v_mul_lo_u32 v95, v41, v78
	v_bfe_u32 v78, v69, 8, 8
	v_lshlrev_b32_sdwa v86, v106, v69 dst_sel:DWORD dst_unused:UNUSED_PAD src0_sel:DWORD src1_sel:BYTE_0
	v_bfe_u32 v87, v70, 8, 8
	v_lshlrev_b32_sdwa v88, v106, v70 dst_sel:DWORD dst_unused:UNUSED_PAD src0_sel:DWORD src1_sel:BYTE_0
	s_clause 0x1
	global_load_dwordx2 v[69:70], v76, s[4:5]
	global_load_dwordx2 v[75:76], v75, s[4:5]
	v_lshl_or_b32 v77, v77, 3, 0x800
	v_bfe_u32 v89, v72, 8, 8
	v_bfe_u32 v80, v71, 8, 8
	v_lshlrev_b32_sdwa v96, v106, v71 dst_sel:DWORD dst_unused:UNUSED_PAD src0_sel:DWORD src1_sel:BYTE_0
	v_lshlrev_b32_sdwa v97, v106, v72 dst_sel:DWORD dst_unused:UNUSED_PAD src0_sel:DWORD src1_sel:BYTE_0
	v_lshl_or_b32 v90, v78, 3, 0x800
	s_clause 0x1
	global_load_dwordx2 v[71:72], v79, s[4:5]
	global_load_dwordx2 v[77:78], v77, s[4:5]
	v_lshl_or_b32 v98, v87, 3, 0x800
	v_lshl_or_b32 v109, v89, 3, 0x800
	;; [unrolled: 1-line block ×3, first 2 shown]
	v_bfe_u32 v111, v82, 8, 8
	v_lshlrev_b32_sdwa v112, v106, v82 dst_sel:DWORD dst_unused:UNUSED_PAD src0_sel:DWORD src1_sel:BYTE_0
	v_bfe_u32 v115, v83, 8, 8
	v_lshlrev_b32_sdwa v117, v106, v83 dst_sel:DWORD dst_unused:UNUSED_PAD src0_sel:DWORD src1_sel:BYTE_0
	;; [unrolled: 2-line block ×5, first 2 shown]
	s_clause 0x7
	global_load_dwordx2 v[91:92], v86, s[4:5]
	global_load_dwordx2 v[93:94], v90, s[4:5]
	;; [unrolled: 1-line block ×8, first 2 shown]
	v_lshl_or_b32 v96, v111, 3, 0x800
	s_andn2_b32 vcc_lo, exec_lo, s1
	s_waitcnt vmcnt(18)
	v_mul_f32_e32 v108, v26, v16
	v_mul_f32_e32 v110, v32, v10
	v_mul_f32_e32 v109, v30, v14
	v_mul_f32_e32 v30, v30, v13
	v_mul_f32_e32 v32, v32, v9
	v_fmac_f32_e32 v108, v25, v15
	v_fmac_f32_e32 v110, v31, v9
	v_mul_f32_e32 v9, v26, v15
	v_fmac_f32_e32 v109, v29, v13
	v_fma_f32 v113, v29, v14, -v30
	v_fma_f32 v114, v31, v10, -v32
	v_lshl_or_b32 v10, v115, 3, 0x800
	global_load_dwordx2 v[29:30], v112, s[4:5]
	v_fma_f32 v112, v25, v16, -v9
	v_mul_f32_e32 v9, v28, v11
	s_clause 0x2
	global_load_dwordx2 v[13:14], v10, s[4:5]
	global_load_dwordx2 v[15:16], v117, s[4:5]
	;; [unrolled: 1-line block ×3, first 2 shown]
	v_lshlrev_b32_sdwa v10, v106, v95 dst_sel:DWORD dst_unused:UNUSED_PAD src0_sel:DWORD src1_sel:BYTE_0
	v_mul_f32_e32 v111, v28, v12
	v_fma_f32 v115, v27, v12, -v9
	v_bfe_u32 v9, v95, 8, 8
	v_lshl_or_b32 v95, v121, 3, 0x800
	s_waitcnt vmcnt(21)
	v_mul_f32_e32 v121, v24, v2
	v_mul_f32_e32 v123, v22, v6
	;; [unrolled: 1-line block ×4, first 2 shown]
	v_fmac_f32_e32 v111, v27, v11
	v_fmac_f32_e32 v121, v23, v1
	s_waitcnt vmcnt(20)
	v_mul_f32_e32 v1, v18, v7
	v_lshl_or_b32 v11, v118, 3, 0x800
	v_lshl_or_b32 v12, v120, 3, 0x800
	v_mul_f32_e32 v118, v18, v8
	v_fmac_f32_e32 v123, v21, v5
	s_clause 0x1
	global_load_dwordx2 v[27:28], v119, s[4:5]
	global_load_dwordx2 v[31:32], v11, s[4:5]
	v_fma_f32 v124, v21, v6, -v22
	v_fma_f32 v120, v23, v2, -v24
	s_clause 0x1
	global_load_dwordx2 v[21:22], v122, s[4:5]
	global_load_dwordx2 v[23:24], v12, s[4:5]
	v_mul_f32_e32 v117, v20, v4
	v_fma_f32 v122, v17, v8, -v1
	v_mul_f32_e32 v1, v20, v3
	v_lshl_or_b32 v2, v9, 3, 0x800
	v_fmac_f32_e32 v118, v17, v7
	s_clause 0x1
	global_load_dwordx2 v[17:18], v125, s[4:5]
	global_load_dwordx2 v[95:96], v95, s[4:5]
	v_fmac_f32_e32 v117, v19, v3
	v_fma_f32 v119, v19, v4, -v1
	s_clause 0x1
	global_load_dwordx2 v[19:20], v10, s[4:5]
	global_load_dwordx2 v[97:98], v2, s[4:5]
	v_and_b32_e32 v1, 31, v101
	v_and_b32_e32 v2, 0x7c, v107
	s_waitcnt vmcnt(27)
	v_mul_f32_e32 v5, v65, v34
	v_or_b32_e32 v3, 0x60, v116
	v_or_b32_e32 v4, 0x80, v116
	v_mul_f32_e32 v116, v64, v36
	v_mul_f32_e32 v6, v63, v36
	v_lshlrev_b32_e32 v8, 3, v2
	v_or_b32_e32 v2, 0x60, v1
	v_mul_lo_u32 v9, v41, v1
	v_fma_f32 v125, v66, v33, -v5
	v_or_b32_e32 v5, 32, v1
	v_mul_f32_e32 v107, v66, v34
	v_or_b32_e32 v7, 64, v1
	v_fmac_f32_e32 v116, v63, v35
	v_fma_f32 v63, v64, v35, -v6
	v_or_b32_e32 v1, 0x80, v1
	v_mul_lo_u32 v34, v41, v2
	s_waitcnt vmcnt(26)
	v_mul_f32_e32 v64, v62, v38
	v_mul_f32_e32 v2, v61, v38
	;; [unrolled: 1-line block ×3, first 2 shown]
	s_waitcnt vmcnt(24)
	v_mul_f32_e32 v36, v68, v74
	v_mul_lo_u32 v12, v41, v5
	v_mul_lo_u32 v35, v41, v1
	v_mul_f32_e32 v1, v59, v40
	v_fmac_f32_e32 v64, v61, v37
	v_fmac_f32_e32 v38, v59, v39
	v_fma_f32 v59, v67, v73, -v36
	v_bfe_u32 v36, v9, 8, 8
	s_waitcnt vmcnt(22)
	v_mul_f32_e32 v61, v69, v76
	v_fmac_f32_e32 v107, v65, v33
	v_mul_lo_u32 v33, v41, v7
	v_fma_f32 v39, v60, v39, -v1
	v_mul_f32_e32 v60, v70, v76
	v_fmac_f32_e32 v61, v70, v75
	s_waitcnt vmcnt(20)
	v_mul_f32_e32 v65, v72, v78
	v_lshl_or_b32 v66, v36, 3, 0x800
	v_bfe_u32 v36, v12, 8, 8
	v_lshlrev_b32_sdwa v70, v106, v12 dst_sel:DWORD dst_unused:UNUSED_PAD src0_sel:DWORD src1_sel:BYTE_0
	v_bfe_u32 v12, v34, 8, 8
	v_mul_lo_u32 v10, v41, v3
	v_mul_lo_u32 v11, v41, v4
	v_mul_f32_e32 v40, v67, v74
	v_fma_f32 v126, v71, v77, -v65
	v_bfe_u32 v65, v33, 8, 8
	v_lshl_or_b32 v128, v12, 3, 0x800
	s_waitcnt vmcnt(16)
	v_mul_f32_e32 v12, v88, v90
	v_fma_f32 v37, v62, v37, -v2
	v_fmac_f32_e32 v40, v68, v73
	v_bfe_u32 v62, v10, 8, 8
	v_fma_f32 v73, v69, v75, -v60
	v_mul_f32_e32 v74, v71, v78
	v_lshl_or_b32 v127, v65, 3, 0x800
	s_waitcnt vmcnt(14)
	v_mul_f32_e32 v65, v80, v84
	v_mul_f32_e32 v69, v79, v84
	v_fma_f32 v84, v87, v89, -v12
	s_waitcnt vmcnt(12)
	v_mul_f32_e32 v12, v82, v86
	v_bfe_u32 v60, v11, 8, 8
	v_lshlrev_b32_sdwa v9, v106, v9 dst_sel:DWORD dst_unused:UNUSED_PAD src0_sel:DWORD src1_sel:BYTE_0
	v_lshlrev_b32_sdwa v10, v106, v10 dst_sel:DWORD dst_unused:UNUSED_PAD src0_sel:DWORD src1_sel:BYTE_0
	;; [unrolled: 1-line block ×3, first 2 shown]
	v_fmac_f32_e32 v74, v72, v77
	v_lshlrev_b32_sdwa v71, v106, v33 dst_sel:DWORD dst_unused:UNUSED_PAD src0_sel:DWORD src1_sel:BYTE_0
	v_bfe_u32 v33, v35, 8, 8
	v_lshlrev_b32_sdwa v72, v106, v34 dst_sel:DWORD dst_unused:UNUSED_PAD src0_sel:DWORD src1_sel:BYTE_0
	v_lshlrev_b32_sdwa v106, v106, v35 dst_sel:DWORD dst_unused:UNUSED_PAD src0_sel:DWORD src1_sel:BYTE_0
	v_lshl_or_b32 v35, v62, 3, 0x800
	v_mul_f32_e32 v34, v92, v94
	v_mul_f32_e32 v62, v91, v94
	;; [unrolled: 1-line block ×3, first 2 shown]
	v_fmac_f32_e32 v69, v80, v83
	v_fma_f32 v80, v81, v85, -v12
	v_lshl_or_b32 v60, v60, 3, 0x800
	s_clause 0x1
	global_load_dwordx4 v[1:4], v8, s[6:7] offset:256
	global_load_dwordx4 v[5:8], v8, s[6:7] offset:240
	v_lshl_or_b32 v94, v36, 3, 0x800
	v_fma_f32 v91, v91, v93, -v34
	v_fmac_f32_e32 v62, v92, v93
	v_lshl_or_b32 v92, v33, 3, 0x800
	s_clause 0x1
	global_load_dwordx2 v[33:34], v10, s[4:5]
	global_load_dwordx2 v[35:36], v35, s[4:5]
	v_fma_f32 v79, v79, v83, -v65
	s_clause 0x3
	global_load_dwordx2 v[75:76], v11, s[4:5]
	global_load_dwordx2 v[77:78], v60, s[4:5]
	global_load_dwordx2 v[9:10], v9, s[4:5]
	global_load_dwordx2 v[11:12], v66, s[4:5]
	v_mul_f32_e32 v90, v87, v90
	v_fmac_f32_e32 v86, v82, v85
	v_sub_f32_e32 v137, v110, v123
	v_fmac_f32_e32 v90, v88, v89
	s_waitcnt vmcnt(17)
	v_mul_f32_e32 v60, v16, v14
	s_waitcnt vmcnt(16)
	v_mul_f32_e32 v81, v29, v26
	v_mul_f32_e32 v65, v30, v26
	v_sub_f32_e32 v26, v110, v109
	v_fma_f32 v82, v15, v13, -v60
	v_fmac_f32_e32 v81, v30, v25
	v_mul_f32_e32 v30, v15, v14
	v_fma_f32 v29, v29, v25, -v65
	v_add_f32_e32 v25, v114, v124
	v_add_f32_e32 v15, v113, v120
	v_sub_f32_e32 v14, v123, v121
	v_fmac_f32_e32 v30, v16, v13
	v_add_f32_e32 v16, v55, v109
	s_waitcnt vmcnt(14)
	v_mul_f32_e32 v65, v28, v32
	v_mul_f32_e32 v13, v27, v32
	v_add_f32_e32 v16, v16, v110
	s_waitcnt vmcnt(12)
	v_mul_f32_e32 v32, v22, v24
	v_mul_f32_e32 v85, v21, v24
	v_fma_f32 v83, v27, v31, -v65
	v_fmac_f32_e32 v13, v28, v31
	v_sub_f32_e32 v27, v114, v113
	v_fma_f32 v87, v21, v23, -v32
	s_waitcnt vmcnt(10)
	v_mul_f32_e32 v28, v18, v96
	v_fmac_f32_e32 v85, v22, v23
	v_mul_f32_e32 v88, v17, v96
	v_sub_f32_e32 v21, v124, v120
	s_waitcnt vmcnt(8)
	v_mul_f32_e32 v23, v20, v98
	v_mul_f32_e32 v93, v19, v98
	v_add_f32_e32 v24, v56, v113
	v_sub_f32_e32 v22, v111, v108
	v_fma_f32 v89, v17, v95, -v28
	v_fmac_f32_e32 v88, v18, v95
	v_sub_f32_e32 v17, v118, v117
	v_sub_f32_e32 v18, v109, v110
	v_add_f32_e32 v28, v115, v122
	v_fma_f32 v95, v19, v97, -v23
	v_fmac_f32_e32 v93, v20, v97
	v_sub_f32_e32 v19, v121, v123
	v_add_f32_e32 v20, v112, v119
	v_fma_f32 v97, -0.5, v25, v56
	v_fmac_f32_e32 v56, -0.5, v15
	v_sub_f32_e32 v15, v115, v112
	v_add_f32_e32 v98, v27, v21
	v_sub_f32_e32 v21, v122, v119
	v_sub_f32_e32 v23, v113, v114
	v_add_f32_e32 v31, v58, v112
	v_add_f32_e32 v96, v26, v14
	v_sub_f32_e32 v14, v120, v124
	v_add_f32_e32 v129, v22, v17
	v_sub_f32_e32 v17, v108, v111
	v_fma_f32 v130, -0.5, v28, v58
	v_fmac_f32_e32 v58, -0.5, v20
	v_sub_f32_e32 v20, v117, v118
	v_add_f32_e32 v131, v15, v21
	v_sub_f32_e32 v15, v112, v115
	v_add_f32_e32 v132, v18, v19
	;; [unrolled: 2-line block ×5, first 2 shown]
	v_add_f32_e32 v18, v24, v114
	v_add_f32_e32 v16, v16, v123
	;; [unrolled: 1-line block ×10, first 2 shown]
	v_sub_f32_e32 v114, v114, v124
	v_sub_f32_e32 v14, v113, v120
	;; [unrolled: 1-line block ×3, first 2 shown]
	v_add_f32_e32 v21, v31, v115
	v_sub_f32_e32 v110, v115, v122
	v_sub_f32_e32 v113, v111, v118
	v_add_f32_e32 v22, v111, v118
	v_fma_f32 v111, -0.5, v15, v55
	v_fma_f32 v55, -0.5, v17, v55
	v_fma_f32 v115, -0.5, v19, v57
	v_add_f32_e32 v15, v20, v118
	v_add_f32_e32 v17, v18, v120
	v_mul_f32_e32 v18, v16, v40
	v_sub_f32_e32 v112, v112, v119
	v_sub_f32_e32 v108, v108, v117
	v_fma_f32 v121, -0.5, v22, v57
	v_add_f32_e32 v19, v21, v122
	v_fmamk_f32 v57, v114, 0x3f737871, v111
	v_fmac_f32_e32 v111, 0xbf737871, v114
	v_mul_f32_e32 v67, v17, v40
	v_fma_f32 v68, v17, v59, -v18
	v_fmamk_f32 v17, v14, 0xbf737871, v55
	v_add_f32_e32 v15, v15, v117
	v_fmamk_f32 v18, v109, 0x3f737871, v97
	v_fmamk_f32 v117, v110, 0x3f737871, v115
	v_fmac_f32_e32 v115, 0xbf737871, v110
	v_fmamk_f32 v118, v113, 0xbf737871, v58
	v_fmac_f32_e32 v58, 0x3f737871, v113
	;; [unrolled: 2-line block ×3, first 2 shown]
	v_add_f32_e32 v19, v19, v119
	v_fmac_f32_e32 v111, 0x3f167918, v14
	v_fmac_f32_e32 v17, 0xbf167918, v114
	v_fmac_f32_e32 v18, 0x3f167918, v137
	v_fmac_f32_e32 v115, 0x3f167918, v112
	v_fmac_f32_e32 v58, 0xbf167918, v108
	v_fmac_f32_e32 v55, 0x3f737871, v14
	v_fmac_f32_e32 v57, 0xbf167918, v14
	v_fmac_f32_e32 v56, 0xbf167918, v109
	v_fmac_f32_e32 v111, 0x3e9e377a, v96
	v_fmac_f32_e32 v17, 0x3e9e377a, v132
	v_fmac_f32_e32 v67, v16, v59
	v_mul_f32_e32 v14, v15, v69
	v_fmac_f32_e32 v18, 0x3e9e377a, v133
	v_fmac_f32_e32 v115, 0x3e9e377a, v129
	v_mul_f32_e32 v59, v19, v69
	v_fmac_f32_e32 v58, 0x3e9e377a, v131
	v_fmac_f32_e32 v56, 0x3e9e377a, v98
	v_fma_f32 v60, v19, v79, -v14
	v_mul_f32_e32 v14, v111, v62
	v_fmac_f32_e32 v59, v15, v79
	v_mul_f32_e32 v15, v115, v13
	v_mul_f32_e32 v31, v58, v13
	;; [unrolled: 1-line block ×4, first 2 shown]
	v_fma_f32 v66, v56, v91, -v14
	v_fma_f32 v32, v58, v83, -v15
	s_clause 0x3
	global_load_dwordx2 v[25:26], v70, s[4:5]
	global_load_dwordx2 v[27:28], v94, s[4:5]
	;; [unrolled: 1-line block ×4, first 2 shown]
	v_fma_f32 v70, v18, v73, -v13
	v_fmac_f32_e32 v69, v17, v73
	s_clause 0x3
	global_load_dwordx2 v[17:18], v72, s[4:5]
	global_load_dwordx2 v[19:20], v128, s[4:5]
	;; [unrolled: 1-line block ×4, first 2 shown]
	v_mul_f32_e32 v65, v56, v62
	v_fmamk_f32 v79, v112, 0xbf737871, v121
	v_fmamk_f32 v62, v108, 0x3f737871, v130
	v_fmac_f32_e32 v97, 0xbf737871, v109
	v_fmac_f32_e32 v40, 0x3f167918, v109
	v_add_f32_e32 v56, v116, v64
	v_add_f32_e32 v58, v107, v38
	v_fmac_f32_e32 v79, 0xbf167918, v110
	v_fmac_f32_e32 v62, 0x3f167918, v113
	;; [unrolled: 1-line block ×7, first 2 shown]
	v_sub_f32_e32 v94, v63, v37
	v_fma_f32 v108, -0.5, v56, v53
	v_fmac_f32_e32 v40, 0x3e9e377a, v98
	v_add_f32_e32 v56, v53, v107
	v_fma_f32 v53, -0.5, v58, v53
	v_mul_f32_e32 v58, v57, v74
	v_fmac_f32_e32 v79, 0x3e9e377a, v134
	v_fmac_f32_e32 v62, 0x3e9e377a, v135
	;; [unrolled: 1-line block ×3, first 2 shown]
	v_sub_f32_e32 v92, v125, v39
	v_sub_f32_e32 v106, v116, v107
	;; [unrolled: 1-line block ×3, first 2 shown]
	v_fmac_f32_e32 v97, 0x3e9e377a, v133
	v_fmamk_f32 v109, v94, 0x3f737871, v53
	v_fmac_f32_e32 v53, 0xbf737871, v94
	v_fmac_f32_e32 v117, 0x3e9e377a, v129
	v_mul_f32_e32 v73, v40, v74
	v_fma_f32 v74, v40, v126, -v58
	v_mul_f32_e32 v58, v79, v81
	v_mul_f32_e32 v61, v62, v81
	v_fmac_f32_e32 v55, 0x3e9e377a, v132
	v_fmac_f32_e32 v118, 0x3e9e377a, v131
	v_mul_f32_e32 v71, v97, v90
	v_mul_f32_e32 v81, v117, v30
	v_fma_f32 v62, v62, v29, -v58
	v_fmac_f32_e32 v61, v79, v29
	v_add_f32_e32 v29, v106, v96
	v_fmac_f32_e32 v109, 0xbf167918, v92
	v_fmac_f32_e32 v53, 0x3f167918, v92
	v_mul_f32_e32 v40, v55, v90
	v_fmac_f32_e32 v73, v57, v126
	v_mul_f32_e32 v57, v118, v30
	v_fmac_f32_e32 v71, v55, v84
	v_fma_f32 v58, v118, v82, -v81
	v_add_f32_e32 v30, v56, v116
	v_fmac_f32_e32 v109, 0x3e9e377a, v29
	v_fmac_f32_e32 v53, 0x3e9e377a, v29
	v_add_f32_e32 v29, v63, v37
	v_add_f32_e32 v55, v54, v125
	;; [unrolled: 1-line block ×3, first 2 shown]
	v_fma_f32 v72, v97, v84, -v40
	v_add_f32_e32 v30, v30, v64
	v_sub_f32_e32 v40, v116, v64
	v_fma_f32 v29, -0.5, v29, v54
	v_add_f32_e32 v55, v55, v63
	v_fmac_f32_e32 v54, -0.5, v81
	v_fmamk_f32 v98, v92, 0xbf737871, v108
	v_add_f32_e32 v30, v30, v38
	v_sub_f32_e32 v38, v107, v38
	v_fmac_f32_e32 v57, v117, v82
	v_sub_f32_e32 v56, v125, v63
	v_sub_f32_e32 v64, v39, v37
	v_add_f32_e32 v55, v55, v37
	v_sub_f32_e32 v63, v63, v125
	v_sub_f32_e32 v37, v37, v39
	v_fmamk_f32 v82, v40, 0xbf737871, v54
	v_fmac_f32_e32 v54, 0x3f737871, v40
	v_fmac_f32_e32 v98, 0xbf167918, v94
	v_fmamk_f32 v79, v38, 0x3f737871, v29
	v_fmac_f32_e32 v29, 0xbf737871, v38
	v_add_f32_e32 v81, v55, v39
	v_add_f32_e32 v37, v63, v37
	v_fmac_f32_e32 v82, 0x3f167918, v38
	v_fmac_f32_e32 v54, 0xbf167918, v38
	;; [unrolled: 1-line block ×4, first 2 shown]
	v_add_f32_e32 v56, v56, v64
	v_fmac_f32_e32 v79, 0x3f167918, v40
	v_fmac_f32_e32 v29, 0xbf167918, v40
	v_mul_f32_e32 v55, v81, v86
	v_fmac_f32_e32 v82, 0x3e9e377a, v37
	v_fmac_f32_e32 v54, 0x3e9e377a, v37
	v_mul_f32_e32 v37, v30, v86
	v_fmac_f32_e32 v121, 0x3f167918, v110
	v_fmac_f32_e32 v108, 0x3f737871, v92
	;; [unrolled: 1-line block ×5, first 2 shown]
	v_mul_f32_e32 v30, v98, v88
	v_fma_f32 v56, v81, v80, -v37
	s_waitcnt vmcnt(12)
	v_mul_f32_e32 v80, v33, v36
	v_fmac_f32_e32 v130, 0xbf167918, v113
	v_fmac_f32_e32 v108, 0x3f167918, v94
	;; [unrolled: 1-line block ×3, first 2 shown]
	v_fma_f32 v40, v79, v89, -v30
	v_mul_f32_e32 v30, v34, v36
	v_fmac_f32_e32 v80, v34, v35
	s_waitcnt vmcnt(10)
	v_mul_f32_e32 v34, v75, v78
	v_fmac_f32_e32 v130, 0x3e9e377a, v135
	v_fmac_f32_e32 v108, 0x3e9e377a, v136
	v_mul_f32_e32 v39, v121, v85
	v_mul_f32_e32 v36, v109, v93
	v_fma_f32 v30, v33, v35, -v30
	v_mul_f32_e32 v35, v76, v78
	v_fmac_f32_e32 v34, v76, v77
	v_mul_f32_e32 v63, v130, v85
	v_fma_f32 v64, v130, v87, -v39
	v_mul_f32_e32 v39, v79, v88
	v_mul_f32_e32 v37, v82, v93
	;; [unrolled: 1-line block ×3, first 2 shown]
	v_fma_f32 v38, v82, v95, -v36
	v_mul_f32_e32 v36, v53, v80
	v_fma_f32 v75, v75, v77, -v35
	v_mul_f32_e32 v35, v29, v34
	v_mul_f32_e32 v76, v108, v34
	v_fmac_f32_e32 v65, v111, v91
	v_fmac_f32_e32 v31, v115, v83
	;; [unrolled: 1-line block ×6, first 2 shown]
	v_fma_f32 v34, v54, v30, -v36
	v_fmac_f32_e32 v35, v108, v75
	v_fma_f32 v36, v29, v75, -v76
	s_cbranch_vccnz .LBB0_18
; %bb.17:
	v_cmp_lt_u32_e32 vcc_lo, 0x31f, v0
	v_mad_u64_u32 v[29:30], null, s12, v100, 0
	s_lshl_b64 s[4:5], s[2:3], 3
	v_and_or_b32 v87, 0x180, v105, v103
	v_cndmask_b32_e64 v53, 0, 0xa0, vcc_lo
	s_add_u32 s4, s14, s4
	s_addc_u32 s5, s15, s5
	v_mad_u64_u32 v[75:76], null, s13, v100, v[30:31]
	v_or_b32_e32 v83, v99, v53
	v_add_nc_u32_e32 v85, 32, v87
	v_add_nc_u32_e32 v88, 64, v87
	s_and_b32 s16, s0, exec_lo
	v_mad_u64_u32 v[53:54], null, s8, v83, 0
	v_add_nc_u32_e32 v81, 32, v83
	v_or_b32_e32 v82, 64, v83
	v_add_nc_u32_e32 v84, 0x60, v83
	v_mad_u64_u32 v[76:77], null, s8, v81, 0
	v_mov_b32_e32 v30, v54
	v_mad_u64_u32 v[78:79], null, s9, v83, v[30:31]
	v_mov_b32_e32 v30, v75
	v_mov_b32_e32 v75, v77
	v_mad_u64_u32 v[79:80], null, s8, v82, 0
	v_add_nc_u32_e32 v83, 0x80, v83
	v_lshlrev_b64 v[29:30], 3, v[29:30]
	v_mov_b32_e32 v54, v78
	v_mad_u64_u32 v[77:78], null, s9, v81, v[75:76]
	v_mov_b32_e32 v75, v80
	v_lshlrev_b64 v[53:54], 3, v[53:54]
	v_add_co_u32 v29, vcc_lo, s4, v29
	v_add_co_ci_u32_e32 v30, vcc_lo, s5, v30, vcc_lo
	v_lshlrev_b64 v[76:77], 3, v[76:77]
	v_add_co_u32 v53, vcc_lo, v29, v53
	v_add_co_ci_u32_e32 v54, vcc_lo, v30, v54, vcc_lo
	v_mad_u64_u32 v[80:81], null, s9, v82, v[75:76]
	v_mad_u64_u32 v[81:82], null, s8, v84, 0
	v_add_co_u32 v75, vcc_lo, v29, v76
	v_add_co_ci_u32_e32 v76, vcc_lo, v30, v77, vcc_lo
	v_mad_u64_u32 v[77:78], null, s8, v83, 0
	global_store_dwordx2 v[53:54], v[67:68], off
	v_mov_b32_e32 v53, v82
                                        ; kill: def $vgpr54 killed $sgpr0 killed $exec
	global_store_dwordx2 v[75:76], v[69:70], off
	v_lshlrev_b64 v[75:76], 3, v[79:80]
	v_mad_u64_u32 v[53:54], null, s9, v84, v[53:54]
	v_mov_b32_e32 v54, v78
	v_add_co_u32 v75, vcc_lo, v29, v75
	v_add_co_ci_u32_e32 v76, vcc_lo, v30, v76, vcc_lo
	v_mad_u64_u32 v[78:79], null, s9, v83, v[54:55]
	v_mad_u64_u32 v[79:80], null, s8, v87, 0
	v_mov_b32_e32 v82, v53
	global_store_dwordx2 v[75:76], v[73:74], off
	v_lshlrev_b64 v[76:77], 3, v[77:78]
	v_lshlrev_b64 v[53:54], 3, v[81:82]
	v_mad_u64_u32 v[81:82], null, s8, v85, 0
	v_mov_b32_e32 v75, v80
	v_add_co_u32 v53, vcc_lo, v29, v53
	v_mad_u64_u32 v[83:84], null, s9, v87, v[75:76]
	v_add_co_ci_u32_e32 v54, vcc_lo, v30, v54, vcc_lo
	v_mov_b32_e32 v75, v82
	v_add_co_u32 v76, vcc_lo, v29, v76
	v_add_co_ci_u32_e32 v77, vcc_lo, v30, v77, vcc_lo
	v_mov_b32_e32 v80, v83
	v_mad_u64_u32 v[84:85], null, s9, v85, v[75:76]
	v_mad_u64_u32 v[85:86], null, s8, v88, 0
	v_add_nc_u32_e32 v83, 0x60, v87
	global_store_dwordx2 v[53:54], v[65:66], off
	global_store_dwordx2 v[76:77], v[71:72], off
	v_lshlrev_b64 v[53:54], 3, v[79:80]
	v_mov_b32_e32 v82, v84
	v_mad_u64_u32 v[76:77], null, s8, v83, 0
	v_mov_b32_e32 v75, v86
	v_and_or_b32 v84, 0x180, v104, v102
	v_lshlrev_b64 v[78:79], 3, v[81:82]
	v_add_co_u32 v53, vcc_lo, v29, v53
	v_add_co_ci_u32_e32 v54, vcc_lo, v30, v54, vcc_lo
	v_mad_u64_u32 v[80:81], null, s9, v88, v[75:76]
	v_mov_b32_e32 v75, v77
	v_add_co_u32 v77, vcc_lo, v29, v78
	v_add_co_ci_u32_e32 v78, vcc_lo, v30, v79, vcc_lo
	v_add_nc_u32_e32 v82, 0x80, v87
	v_mov_b32_e32 v86, v80
	v_mad_u64_u32 v[79:80], null, s9, v83, v[75:76]
	global_store_dwordx2 v[53:54], v[59:60], off
	v_mad_u64_u32 v[80:81], null, s8, v82, 0
	global_store_dwordx2 v[77:78], v[61:62], off
	v_lshlrev_b64 v[53:54], 3, v[85:86]
	v_add_nc_u32_e32 v85, 32, v84
	v_mov_b32_e32 v77, v79
	v_add_nc_u32_e32 v86, 64, v84
	v_add_nc_u32_e32 v87, 0x80, v84
	v_mov_b32_e32 v75, v81
	v_add_co_u32 v53, vcc_lo, v29, v53
	v_lshlrev_b64 v[76:77], 3, v[76:77]
	v_add_co_ci_u32_e32 v54, vcc_lo, v30, v54, vcc_lo
	v_mad_u64_u32 v[78:79], null, s9, v82, v[75:76]
	v_mad_u64_u32 v[82:83], null, s8, v84, 0
	v_add_co_u32 v75, vcc_lo, v29, v76
	v_add_co_ci_u32_e32 v76, vcc_lo, v30, v77, vcc_lo
	v_mov_b32_e32 v81, v78
	v_mad_u64_u32 v[77:78], null, s8, v85, 0
	global_store_dwordx2 v[53:54], v[57:58], off
	v_mov_b32_e32 v53, v83
                                        ; kill: def $vgpr54 killed $sgpr0 killed $exec
	v_lshlrev_b64 v[79:80], 3, v[80:81]
	global_store_dwordx2 v[75:76], v[31:32], off
	v_mad_u64_u32 v[53:54], null, s9, v84, v[53:54]
	v_mov_b32_e32 v54, v78
	v_add_co_u32 v75, vcc_lo, v29, v79
	v_add_co_ci_u32_e32 v76, vcc_lo, v30, v80, vcc_lo
	v_mad_u64_u32 v[78:79], null, s9, v85, v[54:55]
	v_mov_b32_e32 v83, v53
	v_add_nc_u32_e32 v85, 0x60, v84
	v_mad_u64_u32 v[53:54], null, s8, v86, 0
	global_store_dwordx2 v[75:76], v[63:64], off
	v_lshlrev_b64 v[75:76], 3, v[82:83]
	v_mad_u64_u32 v[79:80], null, s8, v85, 0
	v_mad_u64_u32 v[81:82], null, s8, v87, 0
	v_mad_u64_u32 v[83:84], null, s9, v86, v[54:55]
	v_lshlrev_b64 v[77:78], 3, v[77:78]
	v_add_co_u32 v75, vcc_lo, v29, v75
	v_add_co_ci_u32_e32 v76, vcc_lo, v30, v76, vcc_lo
	v_mad_u64_u32 v[84:85], null, s9, v85, v[80:81]
	v_mov_b32_e32 v80, v82
	v_mov_b32_e32 v54, v83
	v_add_co_u32 v77, vcc_lo, v29, v77
	v_add_co_ci_u32_e32 v78, vcc_lo, v30, v78, vcc_lo
	v_mad_u64_u32 v[82:83], null, s9, v87, v[80:81]
	v_mov_b32_e32 v80, v84
	v_lshlrev_b64 v[53:54], 3, v[53:54]
	global_store_dwordx2 v[75:76], v[55:56], off
	global_store_dwordx2 v[77:78], v[39:40], off
	v_lshlrev_b64 v[75:76], 3, v[79:80]
	v_lshlrev_b64 v[77:78], 3, v[81:82]
	v_add_co_u32 v53, vcc_lo, v29, v53
	v_add_co_ci_u32_e32 v54, vcc_lo, v30, v54, vcc_lo
	v_add_co_u32 v75, vcc_lo, v29, v75
	v_add_co_ci_u32_e32 v76, vcc_lo, v30, v76, vcc_lo
	v_add_co_u32 v77, vcc_lo, v29, v77
	v_add_co_ci_u32_e32 v78, vcc_lo, v30, v78, vcc_lo
	global_store_dwordx2 v[53:54], v[37:38], off
	global_store_dwordx2 v[75:76], v[33:34], off
	;; [unrolled: 1-line block ×3, first 2 shown]
	s_cbranch_execz .LBB0_19
	s_branch .LBB0_22
.LBB0_18:
                                        ; implicit-def: $vgpr29_vgpr30
.LBB0_19:
	s_mov_b32 s1, exec_lo
                                        ; implicit-def: $vgpr29_vgpr30
	v_cmpx_gt_u64_e64 s[10:11], v[41:42]
	s_cbranch_execz .LBB0_21
; %bb.20:
	v_cmp_lt_u32_e32 vcc_lo, 0x31f, v0
	v_mad_u64_u32 v[29:30], null, s12, v100, 0
	s_lshl_b64 s[2:3], s[2:3], 3
	s_add_u32 s2, s14, s2
	v_cndmask_b32_e64 v0, 0, 0xa0, vcc_lo
	s_addc_u32 s3, s15, s3
	s_and_b32 s0, s0, exec_lo
	v_or_b32_e32 v79, v99, v0
	v_mov_b32_e32 v0, v30
	v_mad_u64_u32 v[41:42], null, s8, v79, 0
	v_mad_u64_u32 v[53:54], null, s13, v100, v[0:1]
	v_add_nc_u32_e32 v80, 32, v79
	v_or_b32_e32 v81, 64, v79
	v_mov_b32_e32 v0, v42
	v_mad_u64_u32 v[75:76], null, s8, v80, 0
	v_mov_b32_e32 v30, v53
	v_mad_u64_u32 v[53:54], null, s8, v81, 0
	v_mad_u64_u32 v[77:78], null, s9, v79, v[0:1]
	v_lshlrev_b64 v[29:30], 3, v[29:30]
	v_mov_b32_e32 v0, v76
	v_add_co_u32 v29, vcc_lo, s2, v29
	v_mov_b32_e32 v42, v77
	v_add_co_ci_u32_e32 v30, vcc_lo, s3, v30, vcc_lo
	v_mad_u64_u32 v[76:77], null, s9, v80, v[0:1]
	v_lshlrev_b64 v[41:42], 3, v[41:42]
	v_add_nc_u32_e32 v80, 0x60, v79
	v_add_nc_u32_e32 v79, 0x80, v79
	v_mov_b32_e32 v0, v54
	s_andn2_b32 s2, s16, exec_lo
	v_add_co_u32 v41, vcc_lo, v29, v41
	v_add_co_ci_u32_e32 v42, vcc_lo, v30, v42, vcc_lo
	v_mad_u64_u32 v[77:78], null, s9, v81, v[0:1]
	v_and_or_b32 v81, 0x180, v105, v103
	global_store_dwordx2 v[41:42], v[67:68], off
	v_mad_u64_u32 v[41:42], null, s8, v80, 0
	v_mad_u64_u32 v[67:68], null, s8, v79, 0
	v_mov_b32_e32 v54, v77
	v_lshlrev_b64 v[75:76], 3, v[75:76]
	s_or_b32 s16, s2, s0
	v_mov_b32_e32 v0, v42
	v_lshlrev_b64 v[53:54], 3, v[53:54]
	v_mov_b32_e32 v42, v68
	v_add_co_u32 v75, vcc_lo, v29, v75
	v_mad_u64_u32 v[77:78], null, s9, v80, v[0:1]
	v_mad_u64_u32 v[78:79], null, s9, v79, v[42:43]
	v_mad_u64_u32 v[79:80], null, s8, v81, 0
	v_add_co_ci_u32_e32 v76, vcc_lo, v30, v76, vcc_lo
	v_add_co_u32 v53, vcc_lo, v29, v53
	v_add_co_ci_u32_e32 v54, vcc_lo, v30, v54, vcc_lo
	v_mov_b32_e32 v0, v80
	v_mov_b32_e32 v42, v77
	global_store_dwordx2 v[75:76], v[69:70], off
	global_store_dwordx2 v[53:54], v[73:74], off
	v_add_nc_u32_e32 v73, 32, v81
	v_mad_u64_u32 v[53:54], null, s9, v81, v[0:1]
	v_lshlrev_b64 v[41:42], 3, v[41:42]
	v_mov_b32_e32 v68, v78
	v_mad_u64_u32 v[69:70], null, s8, v73, 0
	v_add_nc_u32_e32 v74, 64, v81
	v_add_co_u32 v41, vcc_lo, v29, v41
	v_lshlrev_b64 v[67:68], 3, v[67:68]
	v_mov_b32_e32 v80, v53
	v_add_co_ci_u32_e32 v42, vcc_lo, v30, v42, vcc_lo
	v_mov_b32_e32 v0, v70
	v_lshlrev_b64 v[53:54], 3, v[79:80]
	global_store_dwordx2 v[41:42], v[65:66], off
	v_add_co_u32 v41, vcc_lo, v29, v67
	v_mad_u64_u32 v[65:66], null, s8, v74, 0
	v_add_co_ci_u32_e32 v42, vcc_lo, v30, v68, vcc_lo
	v_mad_u64_u32 v[67:68], null, s9, v73, v[0:1]
	v_add_co_u32 v53, vcc_lo, v29, v53
	v_add_co_ci_u32_e32 v54, vcc_lo, v30, v54, vcc_lo
	global_store_dwordx2 v[41:42], v[71:72], off
	v_add_nc_u32_e32 v71, 0x60, v81
	v_add_nc_u32_e32 v72, 0x80, v81
	v_mov_b32_e32 v0, v66
	global_store_dwordx2 v[53:54], v[59:60], off
	v_mov_b32_e32 v70, v67
	v_mad_u64_u32 v[59:60], null, s8, v71, 0
	v_mad_u64_u32 v[67:68], null, s8, v72, 0
	;; [unrolled: 1-line block ×3, first 2 shown]
	v_lshlrev_b64 v[53:54], 3, v[69:70]
	v_and_or_b32 v73, 0x180, v104, v102
	v_mov_b32_e32 v0, v60
	v_mov_b32_e32 v60, v68
	;; [unrolled: 1-line block ×3, first 2 shown]
	v_add_co_u32 v41, vcc_lo, v29, v53
	v_mad_u64_u32 v[68:69], null, s9, v72, v[60:61]
	v_add_co_ci_u32_e32 v42, vcc_lo, v30, v54, vcc_lo
	v_lshlrev_b64 v[53:54], 3, v[65:66]
	v_mad_u64_u32 v[69:70], null, s8, v73, 0
	v_mad_u64_u32 v[65:66], null, s9, v71, v[0:1]
	global_store_dwordx2 v[41:42], v[61:62], off
	v_add_co_u32 v53, vcc_lo, v29, v53
	v_add_co_ci_u32_e32 v54, vcc_lo, v30, v54, vcc_lo
	v_mov_b32_e32 v0, v70
	v_mov_b32_e32 v60, v65
	global_store_dwordx2 v[53:54], v[57:58], off
	v_lshlrev_b64 v[57:58], 3, v[67:68]
	v_mad_u64_u32 v[53:54], null, s9, v73, v[0:1]
	v_lshlrev_b64 v[41:42], 3, v[59:60]
	v_add_nc_u32_e32 v59, 32, v73
	v_add_nc_u32_e32 v60, 64, v73
	v_add_co_u32 v41, vcc_lo, v29, v41
	v_mov_b32_e32 v70, v53
	v_mad_u64_u32 v[53:54], null, s8, v59, 0
	v_add_co_ci_u32_e32 v42, vcc_lo, v30, v42, vcc_lo
	v_add_co_u32 v57, vcc_lo, v29, v57
	v_add_co_ci_u32_e32 v58, vcc_lo, v30, v58, vcc_lo
	global_store_dwordx2 v[41:42], v[31:32], off
	v_mov_b32_e32 v0, v54
	v_mad_u64_u32 v[41:42], null, s8, v60, 0
	global_store_dwordx2 v[57:58], v[63:64], off
	v_add_nc_u32_e32 v63, 0x60, v73
	v_mad_u64_u32 v[57:58], null, s9, v59, v[0:1]
	v_lshlrev_b64 v[31:32], 3, v[69:70]
	v_add_nc_u32_e32 v64, 0x80, v73
	v_mad_u64_u32 v[58:59], null, s8, v63, 0
	v_mov_b32_e32 v0, v42
	v_add_co_u32 v31, vcc_lo, v29, v31
	v_add_co_ci_u32_e32 v32, vcc_lo, v30, v32, vcc_lo
	v_mad_u64_u32 v[60:61], null, s9, v60, v[0:1]
	v_mad_u64_u32 v[61:62], null, s8, v64, 0
	v_mov_b32_e32 v54, v57
	v_mov_b32_e32 v0, v59
	global_store_dwordx2 v[31:32], v[55:56], off
	v_mov_b32_e32 v42, v60
	v_lshlrev_b64 v[31:32], 3, v[53:54]
	v_mad_u64_u32 v[54:55], null, s9, v63, v[0:1]
	v_mov_b32_e32 v53, v62
	v_lshlrev_b64 v[41:42], 3, v[41:42]
	v_add_co_u32 v31, vcc_lo, v29, v31
	v_add_co_ci_u32_e32 v32, vcc_lo, v30, v32, vcc_lo
	v_mad_u64_u32 v[55:56], null, s9, v64, v[53:54]
	v_mov_b32_e32 v59, v54
	v_add_co_u32 v41, vcc_lo, v29, v41
	v_add_co_ci_u32_e32 v42, vcc_lo, v30, v42, vcc_lo
	global_store_dwordx2 v[31:32], v[39:40], off
	v_mov_b32_e32 v62, v55
	v_lshlrev_b64 v[31:32], 3, v[58:59]
	global_store_dwordx2 v[41:42], v[37:38], off
	v_lshlrev_b64 v[37:38], 3, v[61:62]
	v_add_co_u32 v31, vcc_lo, v29, v31
	v_add_co_ci_u32_e32 v32, vcc_lo, v30, v32, vcc_lo
	v_add_co_u32 v37, vcc_lo, v29, v37
	v_add_co_ci_u32_e32 v38, vcc_lo, v30, v38, vcc_lo
	global_store_dwordx2 v[31:32], v[33:34], off
	global_store_dwordx2 v[37:38], v[35:36], off
.LBB0_21:
	s_or_b32 exec_lo, exec_lo, s1
.LBB0_22:
	s_and_saveexec_b32 s0, s16
	s_cbranch_execnz .LBB0_24
; %bb.23:
	s_endpgm
.LBB0_24:
	v_mul_f32_e32 v0, v50, v6
	v_mul_f32_e32 v31, v52, v8
	;; [unrolled: 1-line block ×5, first 2 shown]
	v_fmac_f32_e32 v0, v49, v5
	v_fmac_f32_e32 v31, v51, v7
	v_mul_f32_e32 v33, v47, v4
	v_fma_f32 v5, v50, v5, -v6
	v_fma_f32 v6, v52, v7, -v8
	v_add_f32_e32 v7, v43, v0
	v_mul_f32_e32 v4, v48, v4
	v_fmac_f32_e32 v32, v45, v1
	v_mul_f32_e32 v2, v45, v2
	v_fma_f32 v33, v48, v3, -v33
	v_add_f32_e32 v7, v7, v31
	v_fmac_f32_e32 v4, v47, v3
	v_add_f32_e32 v8, v31, v32
	v_fma_f32 v1, v46, v1, -v2
	v_sub_f32_e32 v36, v0, v31
	v_add_f32_e32 v2, v7, v32
	v_add_f32_e32 v7, v0, v4
	v_sub_f32_e32 v37, v4, v32
	v_fma_f32 v34, -0.5, v8, v43
	v_sub_f32_e32 v8, v5, v33
	v_sub_f32_e32 v38, v32, v4
	v_fmac_f32_e32 v43, -0.5, v7
	v_add_f32_e32 v7, v36, v37
	v_sub_f32_e32 v37, v31, v0
	v_fmamk_f32 v3, v8, 0xbf737871, v34
	v_sub_f32_e32 v35, v6, v1
	v_fmac_f32_e32 v34, 0x3f737871, v8
	v_add_f32_e32 v39, v6, v1
	v_add_f32_e32 v37, v37, v38
	;; [unrolled: 1-line block ×4, first 2 shown]
	v_fmac_f32_e32 v3, 0xbf167918, v35
	v_fmac_f32_e32 v34, 0x3f167918, v35
	v_fma_f32 v39, -0.5, v39, v44
	v_sub_f32_e32 v0, v0, v4
	v_add_f32_e32 v4, v38, v6
	v_add_f32_e32 v38, v5, v33
	v_fmamk_f32 v36, v35, 0x3f737871, v43
	v_fmac_f32_e32 v3, 0x3e9e377a, v7
	v_fmac_f32_e32 v34, 0x3e9e377a, v7
	;; [unrolled: 1-line block ×3, first 2 shown]
	v_fmamk_f32 v7, v0, 0x3f737871, v39
	v_sub_f32_e32 v31, v31, v32
	v_sub_f32_e32 v32, v5, v6
	;; [unrolled: 1-line block ×3, first 2 shown]
	v_fmac_f32_e32 v44, -0.5, v38
	v_fmac_f32_e32 v39, 0xbf737871, v0
	v_fmac_f32_e32 v36, 0xbf167918, v8
	;; [unrolled: 1-line block ×3, first 2 shown]
	v_add_f32_e32 v4, v4, v1
	v_fmac_f32_e32 v7, 0x3f167918, v31
	v_add_f32_e32 v8, v32, v35
	v_fmamk_f32 v32, v31, 0xbf737871, v44
	v_sub_f32_e32 v5, v6, v5
	v_sub_f32_e32 v1, v1, v33
	v_fmac_f32_e32 v39, 0xbf167918, v31
	s_waitcnt vmcnt(8)
	v_mul_f32_e32 v6, v9, v12
	v_fmac_f32_e32 v44, 0x3f737871, v31
	v_add_f32_e32 v4, v4, v33
	v_fmac_f32_e32 v7, 0x3e9e377a, v8
	v_fmac_f32_e32 v32, 0x3f167918, v0
	v_add_f32_e32 v1, v5, v1
	v_mul_f32_e32 v5, v10, v12
	v_fmac_f32_e32 v6, v10, v11
	v_fmac_f32_e32 v44, 0xbf167918, v0
	;; [unrolled: 1-line block ×3, first 2 shown]
	s_waitcnt vmcnt(6)
	v_mul_f32_e32 v8, v25, v28
	v_fmac_f32_e32 v32, 0x3e9e377a, v1
	v_fma_f32 v5, v9, v11, -v5
	v_mul_f32_e32 v0, v4, v6
	v_fmac_f32_e32 v44, 0x3e9e377a, v1
	v_mul_f32_e32 v1, v2, v6
	v_mul_f32_e32 v6, v26, v28
	v_fmac_f32_e32 v8, v26, v27
	s_waitcnt vmcnt(2)
	v_mul_f32_e32 v10, v17, v20
	v_mul_f32_e32 v9, v21, v24
	v_fmac_f32_e32 v43, 0x3e9e377a, v37
	v_fmac_f32_e32 v0, v2, v5
	v_fma_f32 v1, v4, v5, -v1
	v_fma_f32 v5, v25, v27, -v6
	v_mul_f32_e32 v2, v7, v8
	v_mul_f32_e32 v6, v3, v8
	;; [unrolled: 1-line block ×3, first 2 shown]
	v_fmac_f32_e32 v10, v18, v19
	s_waitcnt vmcnt(0)
	v_mul_f32_e32 v12, v13, v16
	v_fmac_f32_e32 v36, 0x3e9e377a, v37
	v_mul_f32_e32 v4, v22, v24
	v_fmac_f32_e32 v9, v22, v23
	v_fmac_f32_e32 v2, v3, v5
	v_fma_f32 v3, v7, v5, -v6
	v_fma_f32 v7, v17, v19, -v8
	v_mul_f32_e32 v6, v44, v10
	v_mul_f32_e32 v10, v43, v10
	v_fmac_f32_e32 v12, v14, v15
	v_fma_f32 v11, v21, v23, -v4
	v_mul_f32_e32 v4, v32, v9
	v_mul_f32_e32 v5, v36, v9
	v_mad_u64_u32 v[8:9], null, s8, v101, 0
	v_mul_f32_e32 v16, v14, v16
	v_fmac_f32_e32 v6, v43, v7
	v_fma_f32 v7, v44, v7, -v10
	v_mul_f32_e32 v10, v39, v12
	v_add_nc_u32_e32 v19, 62, v99
	v_fmac_f32_e32 v4, v36, v11
	v_fma_f32 v5, v32, v11, -v5
	v_fma_f32 v11, v13, v15, -v16
	v_mul_f32_e32 v15, v34, v12
	v_add_nc_u32_e32 v21, 0x5e, v99
	v_mad_u64_u32 v[12:13], null, s9, v101, v[9:10]
	v_mad_u64_u32 v[13:14], null, s8, v19, 0
	v_fmac_f32_e32 v10, v34, v11
	v_fma_f32 v11, v39, v11, -v15
	v_mad_u64_u32 v[15:16], null, s8, v21, 0
	v_mov_b32_e32 v9, v12
	v_add_nc_u32_e32 v24, 0x9e, v99
	v_mov_b32_e32 v12, v14
	v_add_nc_u32_e32 v23, 0x7e, v99
	v_lshlrev_b64 v[8:9], 3, v[8:9]
	v_mov_b32_e32 v14, v16
	v_mad_u64_u32 v[19:20], null, s9, v19, v[12:13]
	v_mad_u64_u32 v[17:18], null, s8, v23, 0
	;; [unrolled: 1-line block ×4, first 2 shown]
	v_add_co_u32 v8, vcc_lo, v29, v8
	v_add_co_ci_u32_e32 v9, vcc_lo, v30, v9, vcc_lo
	v_mov_b32_e32 v12, v18
	v_mov_b32_e32 v14, v19
	;; [unrolled: 1-line block ×3, first 2 shown]
	global_store_dwordx2 v[8:9], v[0:1], off
	v_mov_b32_e32 v0, v22
                                        ; kill: def $vgpr1 killed $sgpr0 killed $exec
	v_mad_u64_u32 v[18:19], null, s9, v23, v[12:13]
	v_lshlrev_b64 v[8:9], 3, v[13:14]
	v_lshlrev_b64 v[12:13], 3, v[15:16]
	v_mad_u64_u32 v[0:1], null, s9, v24, v[0:1]
	v_add_co_u32 v8, vcc_lo, v29, v8
	v_add_co_ci_u32_e32 v9, vcc_lo, v30, v9, vcc_lo
	v_mov_b32_e32 v22, v0
	v_lshlrev_b64 v[14:15], 3, v[17:18]
	v_add_co_u32 v0, vcc_lo, v29, v12
	v_add_co_ci_u32_e32 v1, vcc_lo, v30, v13, vcc_lo
	v_lshlrev_b64 v[12:13], 3, v[21:22]
	v_add_co_u32 v14, vcc_lo, v29, v14
	v_add_co_ci_u32_e32 v15, vcc_lo, v30, v15, vcc_lo
	v_add_co_u32 v12, vcc_lo, v29, v12
	v_add_co_ci_u32_e32 v13, vcc_lo, v30, v13, vcc_lo
	global_store_dwordx2 v[8:9], v[2:3], off
	global_store_dwordx2 v[0:1], v[4:5], off
	;; [unrolled: 1-line block ×4, first 2 shown]
	s_endpgm
	.section	.rodata,"a",@progbits
	.p2align	6, 0x0
	.amdhsa_kernel fft_rtc_back_len160_factors_2_4_4_5_wgs_250_tpt_10_dim3_sp_ip_CI_sbcc_twdbase8_2step_dirReg
		.amdhsa_group_segment_fixed_size 0
		.amdhsa_private_segment_fixed_size 0
		.amdhsa_kernarg_size 88
		.amdhsa_user_sgpr_count 6
		.amdhsa_user_sgpr_private_segment_buffer 1
		.amdhsa_user_sgpr_dispatch_ptr 0
		.amdhsa_user_sgpr_queue_ptr 0
		.amdhsa_user_sgpr_kernarg_segment_ptr 1
		.amdhsa_user_sgpr_dispatch_id 0
		.amdhsa_user_sgpr_flat_scratch_init 0
		.amdhsa_user_sgpr_private_segment_size 0
		.amdhsa_wavefront_size32 1
		.amdhsa_uses_dynamic_stack 0
		.amdhsa_system_sgpr_private_segment_wavefront_offset 0
		.amdhsa_system_sgpr_workgroup_id_x 1
		.amdhsa_system_sgpr_workgroup_id_y 0
		.amdhsa_system_sgpr_workgroup_id_z 0
		.amdhsa_system_sgpr_workgroup_info 0
		.amdhsa_system_vgpr_workitem_id 0
		.amdhsa_next_free_vgpr 138
		.amdhsa_next_free_sgpr 26
		.amdhsa_reserve_vcc 1
		.amdhsa_reserve_flat_scratch 0
		.amdhsa_float_round_mode_32 0
		.amdhsa_float_round_mode_16_64 0
		.amdhsa_float_denorm_mode_32 3
		.amdhsa_float_denorm_mode_16_64 3
		.amdhsa_dx10_clamp 1
		.amdhsa_ieee_mode 1
		.amdhsa_fp16_overflow 0
		.amdhsa_workgroup_processor_mode 1
		.amdhsa_memory_ordered 1
		.amdhsa_forward_progress 0
		.amdhsa_shared_vgpr_count 0
		.amdhsa_exception_fp_ieee_invalid_op 0
		.amdhsa_exception_fp_denorm_src 0
		.amdhsa_exception_fp_ieee_div_zero 0
		.amdhsa_exception_fp_ieee_overflow 0
		.amdhsa_exception_fp_ieee_underflow 0
		.amdhsa_exception_fp_ieee_inexact 0
		.amdhsa_exception_int_div_zero 0
	.end_amdhsa_kernel
	.text
.Lfunc_end0:
	.size	fft_rtc_back_len160_factors_2_4_4_5_wgs_250_tpt_10_dim3_sp_ip_CI_sbcc_twdbase8_2step_dirReg, .Lfunc_end0-fft_rtc_back_len160_factors_2_4_4_5_wgs_250_tpt_10_dim3_sp_ip_CI_sbcc_twdbase8_2step_dirReg
                                        ; -- End function
	.section	.AMDGPU.csdata,"",@progbits
; Kernel info:
; codeLenInByte = 11852
; NumSgprs: 28
; NumVgprs: 138
; ScratchSize: 0
; MemoryBound: 0
; FloatMode: 240
; IeeeMode: 1
; LDSByteSize: 0 bytes/workgroup (compile time only)
; SGPRBlocks: 3
; VGPRBlocks: 17
; NumSGPRsForWavesPerEU: 28
; NumVGPRsForWavesPerEU: 138
; Occupancy: 7
; WaveLimiterHint : 1
; COMPUTE_PGM_RSRC2:SCRATCH_EN: 0
; COMPUTE_PGM_RSRC2:USER_SGPR: 6
; COMPUTE_PGM_RSRC2:TRAP_HANDLER: 0
; COMPUTE_PGM_RSRC2:TGID_X_EN: 1
; COMPUTE_PGM_RSRC2:TGID_Y_EN: 0
; COMPUTE_PGM_RSRC2:TGID_Z_EN: 0
; COMPUTE_PGM_RSRC2:TIDIG_COMP_CNT: 0
	.text
	.p2alignl 6, 3214868480
	.fill 48, 4, 3214868480
	.type	__hip_cuid_643ba01847391a2d,@object ; @__hip_cuid_643ba01847391a2d
	.section	.bss,"aw",@nobits
	.globl	__hip_cuid_643ba01847391a2d
__hip_cuid_643ba01847391a2d:
	.byte	0                               ; 0x0
	.size	__hip_cuid_643ba01847391a2d, 1

	.ident	"AMD clang version 19.0.0git (https://github.com/RadeonOpenCompute/llvm-project roc-6.4.0 25133 c7fe45cf4b819c5991fe208aaa96edf142730f1d)"
	.section	".note.GNU-stack","",@progbits
	.addrsig
	.addrsig_sym __hip_cuid_643ba01847391a2d
	.amdgpu_metadata
---
amdhsa.kernels:
  - .args:
      - .actual_access:  read_only
        .address_space:  global
        .offset:         0
        .size:           8
        .value_kind:     global_buffer
      - .address_space:  global
        .offset:         8
        .size:           8
        .value_kind:     global_buffer
      - .actual_access:  read_only
        .address_space:  global
        .offset:         16
        .size:           8
        .value_kind:     global_buffer
      - .actual_access:  read_only
        .address_space:  global
        .offset:         24
        .size:           8
        .value_kind:     global_buffer
      - .offset:         32
        .size:           8
        .value_kind:     by_value
      - .actual_access:  read_only
        .address_space:  global
        .offset:         40
        .size:           8
        .value_kind:     global_buffer
      - .actual_access:  read_only
        .address_space:  global
        .offset:         48
        .size:           8
        .value_kind:     global_buffer
      - .offset:         56
        .size:           4
        .value_kind:     by_value
      - .actual_access:  read_only
        .address_space:  global
        .offset:         64
        .size:           8
        .value_kind:     global_buffer
      - .actual_access:  read_only
        .address_space:  global
        .offset:         72
        .size:           8
        .value_kind:     global_buffer
      - .address_space:  global
        .offset:         80
        .size:           8
        .value_kind:     global_buffer
    .group_segment_fixed_size: 0
    .kernarg_segment_align: 8
    .kernarg_segment_size: 88
    .language:       OpenCL C
    .language_version:
      - 2
      - 0
    .max_flat_workgroup_size: 250
    .name:           fft_rtc_back_len160_factors_2_4_4_5_wgs_250_tpt_10_dim3_sp_ip_CI_sbcc_twdbase8_2step_dirReg
    .private_segment_fixed_size: 0
    .sgpr_count:     28
    .sgpr_spill_count: 0
    .symbol:         fft_rtc_back_len160_factors_2_4_4_5_wgs_250_tpt_10_dim3_sp_ip_CI_sbcc_twdbase8_2step_dirReg.kd
    .uniform_work_group_size: 1
    .uses_dynamic_stack: false
    .vgpr_count:     138
    .vgpr_spill_count: 0
    .wavefront_size: 32
    .workgroup_processor_mode: 1
amdhsa.target:   amdgcn-amd-amdhsa--gfx1030
amdhsa.version:
  - 1
  - 2
...

	.end_amdgpu_metadata
